;; amdgpu-corpus repo=ROCm/rocFFT kind=compiled arch=gfx906 opt=O3
	.text
	.amdgcn_target "amdgcn-amd-amdhsa--gfx906"
	.amdhsa_code_object_version 6
	.protected	fft_rtc_back_len884_factors_13_4_17_wgs_204_tpt_68_halfLds_dp_ip_CI_sbrr_dirReg ; -- Begin function fft_rtc_back_len884_factors_13_4_17_wgs_204_tpt_68_halfLds_dp_ip_CI_sbrr_dirReg
	.globl	fft_rtc_back_len884_factors_13_4_17_wgs_204_tpt_68_halfLds_dp_ip_CI_sbrr_dirReg
	.p2align	8
	.type	fft_rtc_back_len884_factors_13_4_17_wgs_204_tpt_68_halfLds_dp_ip_CI_sbrr_dirReg,@function
fft_rtc_back_len884_factors_13_4_17_wgs_204_tpt_68_halfLds_dp_ip_CI_sbrr_dirReg: ; @fft_rtc_back_len884_factors_13_4_17_wgs_204_tpt_68_halfLds_dp_ip_CI_sbrr_dirReg
; %bb.0:
	s_load_dwordx2 s[2:3], s[4:5], 0x18
	s_load_dwordx4 s[8:11], s[4:5], 0x0
	s_load_dwordx2 s[14:15], s[4:5], 0x50
	v_mul_u32_u24_e32 v1, 0x3c4, v0
	v_lshrrev_b32_e32 v1, 16, v1
	v_mad_u64_u32 v[24:25], s[0:1], s6, 3, v[1:2]
	s_waitcnt lgkmcnt(0)
	s_load_dwordx2 s[12:13], s[2:3], 0x0
	v_mov_b32_e32 v3, 0
	v_cmp_lt_u64_e64 s[0:1], s[10:11], 2
	v_mov_b32_e32 v25, v3
	v_mov_b32_e32 v1, 0
	;; [unrolled: 1-line block ×3, first 2 shown]
	s_and_b64 vcc, exec, s[0:1]
	v_mov_b32_e32 v2, 0
	v_mov_b32_e32 v8, v25
	s_cbranch_vccnz .LBB0_8
; %bb.1:
	s_load_dwordx2 s[0:1], s[4:5], 0x10
	s_add_u32 s6, s2, 8
	s_addc_u32 s7, s3, 0
	v_mov_b32_e32 v1, 0
	v_mov_b32_e32 v5, v24
	s_waitcnt lgkmcnt(0)
	s_add_u32 s18, s0, 8
	s_mov_b64 s[16:17], 1
	v_mov_b32_e32 v2, 0
	s_addc_u32 s19, s1, 0
	v_mov_b32_e32 v6, v25
.LBB0_2:                                ; =>This Inner Loop Header: Depth=1
	s_load_dwordx2 s[20:21], s[18:19], 0x0
                                        ; implicit-def: $vgpr7_vgpr8
	s_waitcnt lgkmcnt(0)
	v_or_b32_e32 v4, s21, v6
	v_cmp_ne_u64_e32 vcc, 0, v[3:4]
	s_and_saveexec_b64 s[0:1], vcc
	s_xor_b64 s[22:23], exec, s[0:1]
	s_cbranch_execz .LBB0_4
; %bb.3:                                ;   in Loop: Header=BB0_2 Depth=1
	v_cvt_f32_u32_e32 v4, s20
	v_cvt_f32_u32_e32 v7, s21
	s_sub_u32 s0, 0, s20
	s_subb_u32 s1, 0, s21
	v_mac_f32_e32 v4, 0x4f800000, v7
	v_rcp_f32_e32 v4, v4
	v_mul_f32_e32 v4, 0x5f7ffffc, v4
	v_mul_f32_e32 v7, 0x2f800000, v4
	v_trunc_f32_e32 v7, v7
	v_mac_f32_e32 v4, 0xcf800000, v7
	v_cvt_u32_f32_e32 v7, v7
	v_cvt_u32_f32_e32 v4, v4
	v_mul_lo_u32 v8, s0, v7
	v_mul_hi_u32 v9, s0, v4
	v_mul_lo_u32 v11, s1, v4
	v_mul_lo_u32 v10, s0, v4
	v_add_u32_e32 v8, v9, v8
	v_add_u32_e32 v8, v8, v11
	v_mul_hi_u32 v9, v4, v10
	v_mul_lo_u32 v11, v4, v8
	v_mul_hi_u32 v13, v4, v8
	v_mul_hi_u32 v12, v7, v10
	v_mul_lo_u32 v10, v7, v10
	v_mul_hi_u32 v14, v7, v8
	v_add_co_u32_e32 v9, vcc, v9, v11
	v_addc_co_u32_e32 v11, vcc, 0, v13, vcc
	v_mul_lo_u32 v8, v7, v8
	v_add_co_u32_e32 v9, vcc, v9, v10
	v_addc_co_u32_e32 v9, vcc, v11, v12, vcc
	v_addc_co_u32_e32 v10, vcc, 0, v14, vcc
	v_add_co_u32_e32 v8, vcc, v9, v8
	v_addc_co_u32_e32 v9, vcc, 0, v10, vcc
	v_add_co_u32_e32 v4, vcc, v4, v8
	v_addc_co_u32_e32 v7, vcc, v7, v9, vcc
	v_mul_lo_u32 v8, s0, v7
	v_mul_hi_u32 v9, s0, v4
	v_mul_lo_u32 v10, s1, v4
	v_mul_lo_u32 v11, s0, v4
	v_add_u32_e32 v8, v9, v8
	v_add_u32_e32 v8, v8, v10
	v_mul_lo_u32 v12, v4, v8
	v_mul_hi_u32 v13, v4, v11
	v_mul_hi_u32 v14, v4, v8
	;; [unrolled: 1-line block ×3, first 2 shown]
	v_mul_lo_u32 v11, v7, v11
	v_mul_hi_u32 v9, v7, v8
	v_add_co_u32_e32 v12, vcc, v13, v12
	v_addc_co_u32_e32 v13, vcc, 0, v14, vcc
	v_mul_lo_u32 v8, v7, v8
	v_add_co_u32_e32 v11, vcc, v12, v11
	v_addc_co_u32_e32 v10, vcc, v13, v10, vcc
	v_addc_co_u32_e32 v9, vcc, 0, v9, vcc
	v_add_co_u32_e32 v8, vcc, v10, v8
	v_addc_co_u32_e32 v9, vcc, 0, v9, vcc
	v_add_co_u32_e32 v4, vcc, v4, v8
	v_addc_co_u32_e32 v9, vcc, v7, v9, vcc
	v_mad_u64_u32 v[7:8], s[0:1], v5, v9, 0
	v_mul_hi_u32 v10, v5, v4
	v_add_co_u32_e32 v11, vcc, v10, v7
	v_addc_co_u32_e32 v12, vcc, 0, v8, vcc
	v_mad_u64_u32 v[7:8], s[0:1], v6, v4, 0
	v_mad_u64_u32 v[9:10], s[0:1], v6, v9, 0
	v_add_co_u32_e32 v4, vcc, v11, v7
	v_addc_co_u32_e32 v4, vcc, v12, v8, vcc
	v_addc_co_u32_e32 v7, vcc, 0, v10, vcc
	v_add_co_u32_e32 v4, vcc, v4, v9
	v_addc_co_u32_e32 v9, vcc, 0, v7, vcc
	v_mul_lo_u32 v10, s21, v4
	v_mul_lo_u32 v11, s20, v9
	v_mad_u64_u32 v[7:8], s[0:1], s20, v4, 0
	v_add3_u32 v8, v8, v11, v10
	v_sub_u32_e32 v10, v6, v8
	v_mov_b32_e32 v11, s21
	v_sub_co_u32_e32 v7, vcc, v5, v7
	v_subb_co_u32_e64 v10, s[0:1], v10, v11, vcc
	v_subrev_co_u32_e64 v11, s[0:1], s20, v7
	v_subbrev_co_u32_e64 v10, s[0:1], 0, v10, s[0:1]
	v_cmp_le_u32_e64 s[0:1], s21, v10
	v_cndmask_b32_e64 v12, 0, -1, s[0:1]
	v_cmp_le_u32_e64 s[0:1], s20, v11
	v_cndmask_b32_e64 v11, 0, -1, s[0:1]
	v_cmp_eq_u32_e64 s[0:1], s21, v10
	v_cndmask_b32_e64 v10, v12, v11, s[0:1]
	v_add_co_u32_e64 v11, s[0:1], 2, v4
	v_addc_co_u32_e64 v12, s[0:1], 0, v9, s[0:1]
	v_add_co_u32_e64 v13, s[0:1], 1, v4
	v_addc_co_u32_e64 v14, s[0:1], 0, v9, s[0:1]
	v_subb_co_u32_e32 v8, vcc, v6, v8, vcc
	v_cmp_ne_u32_e64 s[0:1], 0, v10
	v_cmp_le_u32_e32 vcc, s21, v8
	v_cndmask_b32_e64 v10, v14, v12, s[0:1]
	v_cndmask_b32_e64 v12, 0, -1, vcc
	v_cmp_le_u32_e32 vcc, s20, v7
	v_cndmask_b32_e64 v7, 0, -1, vcc
	v_cmp_eq_u32_e32 vcc, s21, v8
	v_cndmask_b32_e32 v7, v12, v7, vcc
	v_cmp_ne_u32_e32 vcc, 0, v7
	v_cndmask_b32_e64 v7, v13, v11, s[0:1]
	v_cndmask_b32_e32 v8, v9, v10, vcc
	v_cndmask_b32_e32 v7, v4, v7, vcc
.LBB0_4:                                ;   in Loop: Header=BB0_2 Depth=1
	s_andn2_saveexec_b64 s[0:1], s[22:23]
	s_cbranch_execz .LBB0_6
; %bb.5:                                ;   in Loop: Header=BB0_2 Depth=1
	v_cvt_f32_u32_e32 v4, s20
	s_sub_i32 s22, 0, s20
	v_rcp_iflag_f32_e32 v4, v4
	v_mul_f32_e32 v4, 0x4f7ffffe, v4
	v_cvt_u32_f32_e32 v4, v4
	v_mul_lo_u32 v7, s22, v4
	v_mul_hi_u32 v7, v4, v7
	v_add_u32_e32 v4, v4, v7
	v_mul_hi_u32 v4, v5, v4
	v_mul_lo_u32 v7, v4, s20
	v_add_u32_e32 v8, 1, v4
	v_sub_u32_e32 v7, v5, v7
	v_subrev_u32_e32 v9, s20, v7
	v_cmp_le_u32_e32 vcc, s20, v7
	v_cndmask_b32_e32 v7, v7, v9, vcc
	v_cndmask_b32_e32 v4, v4, v8, vcc
	v_add_u32_e32 v8, 1, v4
	v_cmp_le_u32_e32 vcc, s20, v7
	v_cndmask_b32_e32 v7, v4, v8, vcc
	v_mov_b32_e32 v8, v3
.LBB0_6:                                ;   in Loop: Header=BB0_2 Depth=1
	s_or_b64 exec, exec, s[0:1]
	v_mul_lo_u32 v4, v8, s20
	v_mul_lo_u32 v11, v7, s21
	v_mad_u64_u32 v[9:10], s[0:1], v7, s20, 0
	s_load_dwordx2 s[0:1], s[6:7], 0x0
	s_add_u32 s16, s16, 1
	v_add3_u32 v4, v10, v11, v4
	v_sub_co_u32_e32 v5, vcc, v5, v9
	v_subb_co_u32_e32 v4, vcc, v6, v4, vcc
	s_waitcnt lgkmcnt(0)
	v_mul_lo_u32 v4, s0, v4
	v_mul_lo_u32 v6, s1, v5
	v_mad_u64_u32 v[1:2], s[0:1], s0, v5, v[1:2]
	s_addc_u32 s17, s17, 0
	s_add_u32 s6, s6, 8
	v_add3_u32 v2, v6, v2, v4
	v_mov_b32_e32 v4, s10
	v_mov_b32_e32 v5, s11
	s_addc_u32 s7, s7, 0
	v_cmp_ge_u64_e32 vcc, s[16:17], v[4:5]
	s_add_u32 s18, s18, 8
	s_addc_u32 s19, s19, 0
	s_cbranch_vccnz .LBB0_8
; %bb.7:                                ;   in Loop: Header=BB0_2 Depth=1
	v_mov_b32_e32 v5, v7
	v_mov_b32_e32 v6, v8
	s_branch .LBB0_2
.LBB0_8:
	s_lshl_b64 s[0:1], s[10:11], 3
	s_add_u32 s0, s2, s0
	s_addc_u32 s1, s3, s1
	s_load_dwordx2 s[2:3], s[0:1], 0x0
	s_load_dwordx2 s[6:7], s[4:5], 0x20
                                        ; implicit-def: $vgpr73
                                        ; implicit-def: $vgpr72
                                        ; implicit-def: $vgpr108
	s_waitcnt lgkmcnt(0)
	v_mad_u64_u32 v[1:2], s[0:1], s2, v7, v[1:2]
	s_mov_b32 s0, 0x3c3c3c4
	v_mul_lo_u32 v3, s2, v8
	v_mul_lo_u32 v4, s3, v7
	v_mul_hi_u32 v5, v0, s0
	v_cmp_gt_u64_e32 vcc, s[6:7], v[7:8]
	v_cmp_le_u64_e64 s[0:1], s[6:7], v[7:8]
	v_add3_u32 v2, v4, v2, v3
	v_mul_u32_u24_e32 v3, 0x44, v5
	v_sub_u32_e32 v180, v0, v3
	s_and_saveexec_b64 s[2:3], s[0:1]
	s_xor_b64 s[0:1], exec, s[2:3]
; %bb.9:
	v_add_u32_e32 v73, 0x44, v180
	v_add_u32_e32 v72, 0x88, v180
	;; [unrolled: 1-line block ×3, first 2 shown]
; %bb.10:
	s_or_saveexec_b64 s[2:3], s[0:1]
	v_lshlrev_b64 v[92:93], 4, v[1:2]
                                        ; implicit-def: $vgpr58_vgpr59
                                        ; implicit-def: $vgpr46_vgpr47
                                        ; implicit-def: $vgpr10_vgpr11
                                        ; implicit-def: $vgpr2_vgpr3
                                        ; implicit-def: $vgpr18_vgpr19
                                        ; implicit-def: $vgpr42_vgpr43
                                        ; implicit-def: $vgpr62_vgpr63
                                        ; implicit-def: $vgpr50_vgpr51
                                        ; implicit-def: $vgpr14_vgpr15
                                        ; implicit-def: $vgpr6_vgpr7
                                        ; implicit-def: $vgpr22_vgpr23
                                        ; implicit-def: $vgpr38_vgpr39
                                        ; implicit-def: $vgpr54_vgpr55
	s_xor_b64 exec, exec, s[2:3]
	s_cbranch_execz .LBB0_12
; %bb.11:
	v_mad_u64_u32 v[0:1], s[0:1], s12, v180, 0
	v_add_u32_e32 v73, 0x44, v180
	v_mov_b32_e32 v4, s15
	v_mad_u64_u32 v[1:2], s[0:1], s13, v180, v[1:2]
	v_mad_u64_u32 v[2:3], s[0:1], s12, v73, 0
	v_add_co_u32_e64 v8, s[0:1], s14, v92
	v_addc_co_u32_e64 v9, s[0:1], v4, v93, s[0:1]
	v_mad_u64_u32 v[3:4], s[0:1], s13, v73, v[3:4]
	v_add_u32_e32 v72, 0x88, v180
	v_mad_u64_u32 v[4:5], s[0:1], s12, v72, 0
	v_lshlrev_b64 v[0:1], 4, v[0:1]
	v_add_u32_e32 v108, 0xcc, v180
	v_add_co_u32_e64 v25, s[0:1], v8, v0
	v_addc_co_u32_e64 v26, s[0:1], v9, v1, s[0:1]
	v_lshlrev_b64 v[0:1], 4, v[2:3]
	v_mov_b32_e32 v2, v5
	v_mad_u64_u32 v[2:3], s[0:1], s13, v72, v[2:3]
	v_mad_u64_u32 v[6:7], s[0:1], s12, v108, 0
	v_add_co_u32_e64 v27, s[0:1], v8, v0
	v_mov_b32_e32 v5, v2
	v_mov_b32_e32 v2, v7
	v_addc_co_u32_e64 v28, s[0:1], v9, v1, s[0:1]
	v_lshlrev_b64 v[0:1], 4, v[4:5]
	v_mad_u64_u32 v[2:3], s[0:1], s13, v108, v[2:3]
	v_add_u32_e32 v5, 0x110, v180
	v_mad_u64_u32 v[3:4], s[0:1], s12, v5, 0
	v_add_co_u32_e64 v29, s[0:1], v8, v0
	v_mov_b32_e32 v7, v2
	v_mov_b32_e32 v2, v4
	v_addc_co_u32_e64 v30, s[0:1], v9, v1, s[0:1]
	v_lshlrev_b64 v[0:1], 4, v[6:7]
	v_mad_u64_u32 v[4:5], s[0:1], s13, v5, v[2:3]
	v_add_u32_e32 v7, 0x154, v180
	v_mad_u64_u32 v[5:6], s[0:1], s12, v7, 0
	v_add_co_u32_e64 v31, s[0:1], v8, v0
	v_mov_b32_e32 v2, v6
	v_addc_co_u32_e64 v32, s[0:1], v9, v1, s[0:1]
	v_lshlrev_b64 v[0:1], 4, v[3:4]
	v_mad_u64_u32 v[2:3], s[0:1], s13, v7, v[2:3]
	v_add_u32_e32 v7, 0x198, v180
	v_mad_u64_u32 v[3:4], s[0:1], s12, v7, 0
	v_add_co_u32_e64 v33, s[0:1], v8, v0
	v_mov_b32_e32 v6, v2
	v_mov_b32_e32 v2, v4
	v_addc_co_u32_e64 v34, s[0:1], v9, v1, s[0:1]
	v_lshlrev_b64 v[0:1], 4, v[5:6]
	v_mad_u64_u32 v[4:5], s[0:1], s13, v7, v[2:3]
	v_add_u32_e32 v7, 0x1dc, v180
	v_mad_u64_u32 v[5:6], s[0:1], s12, v7, 0
	v_add_co_u32_e64 v64, s[0:1], v8, v0
	;; [unrolled: 15-line block ×4, first 2 shown]
	v_mov_b32_e32 v2, v6
	v_addc_co_u32_e64 v75, s[0:1], v9, v1, s[0:1]
	v_lshlrev_b64 v[0:1], 4, v[3:4]
	v_mad_u64_u32 v[2:3], s[0:1], s13, v7, v[2:3]
	v_add_u32_e32 v7, 0x330, v180
	v_mad_u64_u32 v[3:4], s[0:1], s12, v7, 0
	v_add_co_u32_e64 v76, s[0:1], v8, v0
	v_mov_b32_e32 v6, v2
	v_mov_b32_e32 v2, v4
	v_addc_co_u32_e64 v77, s[0:1], v9, v1, s[0:1]
	v_lshlrev_b64 v[0:1], 4, v[5:6]
	v_mad_u64_u32 v[4:5], s[0:1], s13, v7, v[2:3]
	v_add_co_u32_e64 v78, s[0:1], v8, v0
	v_addc_co_u32_e64 v79, s[0:1], v9, v1, s[0:1]
	v_lshlrev_b64 v[0:1], 4, v[3:4]
	v_add_co_u32_e64 v80, s[0:1], v8, v0
	v_addc_co_u32_e64 v81, s[0:1], v9, v1, s[0:1]
	global_load_dwordx4 v[52:55], v[25:26], off
	global_load_dwordx4 v[56:59], v[27:28], off
	;; [unrolled: 1-line block ×13, first 2 shown]
.LBB0_12:
	s_or_b64 exec, exec, s[2:3]
	s_waitcnt vmcnt(11)
	v_add_f64 v[25:26], v[56:57], v[52:53]
	s_waitcnt vmcnt(0)
	v_add_f64 v[29:30], v[58:59], -v[62:63]
	s_mov_b32 s40, 0x4267c47c
	s_mov_b32 s26, 0x42a4c3d2
	;; [unrolled: 1-line block ×6, first 2 shown]
	v_add_f64 v[25:26], v[44:45], v[25:26]
	s_mov_b32 s41, 0xbfddbe06
	s_mov_b32 s27, 0xbfea55e2
	;; [unrolled: 1-line block ×6, first 2 shown]
	v_add_f64 v[27:28], v[56:57], v[60:61]
	v_add_f64 v[25:26], v[36:37], v[25:26]
	v_add_f64 v[64:65], v[46:47], -v[50:51]
	v_mul_f64 v[66:67], v[29:30], s[40:41]
	v_mul_f64 v[68:69], v[29:30], s[26:27]
	;; [unrolled: 1-line block ×6, first 2 shown]
	v_add_f64 v[25:26], v[20:21], v[25:26]
	s_mov_b32 s0, 0xaaaaaaab
	v_mul_hi_u32 v31, v24, s0
	s_mov_b32 s10, 0xe00740e9
	s_mov_b32 s4, 0x1ea71119
	;; [unrolled: 1-line block ×5, first 2 shown]
	v_add_f64 v[25:26], v[8:9], v[25:26]
	s_mov_b32 s22, 0x93053d00
	v_lshrrev_b32_e32 v31, 1, v31
	s_mov_b32 s11, 0x3fec55a7
	s_mov_b32 s5, 0x3fe22d96
	;; [unrolled: 1-line block ×6, first 2 shown]
	v_lshl_add_u32 v31, v31, 1, v31
	v_add_f64 v[33:34], v[44:45], v[48:49]
	v_sub_u32_e32 v31, v24, v31
	v_add_f64 v[24:25], v[0:1], v[25:26]
	v_mul_f64 v[78:79], v[64:65], s[26:27]
	v_mul_f64 v[80:81], v[64:65], s[16:17]
	v_fma_f64 v[86:87], v[27:28], s[10:11], v[66:67]
	v_fma_f64 v[66:67], v[27:28], s[10:11], -v[66:67]
	v_fma_f64 v[88:89], v[27:28], s[4:5], v[68:69]
	v_fma_f64 v[68:69], v[27:28], s[4:5], -v[68:69]
	;; [unrolled: 2-line block ×6, first 2 shown]
	s_mov_b32 s37, 0x3fe5384d
	s_mov_b32 s36, s18
	;; [unrolled: 1-line block ×4, first 2 shown]
	v_mul_u32_u24_e32 v32, 0x374, v31
	v_mul_f64 v[82:83], v[64:65], s[24:25]
	v_mul_f64 v[84:85], v[64:65], s[36:37]
	v_fma_f64 v[28:29], v[33:34], s[4:5], v[78:79]
	v_fma_f64 v[30:31], v[33:34], s[4:5], -v[78:79]
	v_fma_f64 v[78:79], v[33:34], s[6:7], v[80:81]
	v_fma_f64 v[80:81], v[33:34], s[6:7], -v[80:81]
	v_add_f64 v[86:87], v[86:87], v[52:53]
	v_add_f64 v[66:67], v[66:67], v[52:53]
	;; [unrolled: 1-line block ×12, first 2 shown]
	v_mul_f64 v[52:53], v[64:65], s[28:29]
	s_mov_b32 s35, 0x3fddbe06
	s_mov_b32 s34, s40
	v_fma_f64 v[100:101], v[33:34], s[22:23], v[82:83]
	v_add_f64 v[28:29], v[28:29], v[86:87]
	v_add_f64 v[30:31], v[30:31], v[66:67]
	;; [unrolled: 1-line block ×4, first 2 shown]
	v_fma_f64 v[80:81], v[33:34], s[22:23], -v[82:83]
	v_fma_f64 v[82:83], v[33:34], s[20:21], v[84:85]
	v_add_f64 v[86:87], v[38:39], -v[42:43]
	v_fma_f64 v[84:85], v[33:34], s[20:21], -v[84:85]
	v_fma_f64 v[88:89], v[33:34], s[2:3], v[52:53]
	v_fma_f64 v[52:53], v[33:34], s[2:3], -v[52:53]
	v_mul_f64 v[64:65], v[64:65], s[34:35]
	v_add_f64 v[78:79], v[100:101], v[90:91]
	v_add_f64 v[90:91], v[40:41], v[36:37]
	s_mov_b32 s45, 0x3fedeba7
	v_mul_f64 v[100:101], v[86:87], s[30:31]
	v_add_f64 v[74:75], v[84:85], v[74:75]
	v_mul_f64 v[84:85], v[86:87], s[24:25]
	v_add_f64 v[52:53], v[52:53], v[76:77]
	v_fma_f64 v[76:77], v[33:34], s[10:11], v[64:65]
	v_fma_f64 v[33:34], v[33:34], s[10:11], -v[64:65]
	s_mov_b32 s44, s16
	v_add_f64 v[70:71], v[80:81], v[70:71]
	v_add_f64 v[80:81], v[82:83], v[94:95]
	v_add_f64 v[82:83], v[88:89], v[96:97]
	v_fma_f64 v[64:65], v[90:91], s[2:3], v[100:101]
	v_fma_f64 v[88:89], v[90:91], s[2:3], -v[100:101]
	v_mul_f64 v[94:95], v[86:87], s[44:45]
	v_add_f64 v[26:27], v[33:34], v[26:27]
	v_mul_f64 v[33:34], v[86:87], s[34:35]
	v_fma_f64 v[96:97], v[90:91], s[22:23], v[84:85]
	v_fma_f64 v[84:85], v[90:91], s[22:23], -v[84:85]
	v_add_f64 v[76:77], v[76:77], v[98:99]
	v_add_f64 v[28:29], v[64:65], v[28:29]
	;; [unrolled: 1-line block ×3, first 2 shown]
	v_fma_f64 v[64:65], v[90:91], s[6:7], v[94:95]
	v_fma_f64 v[88:89], v[90:91], s[6:7], -v[94:95]
	v_mul_f64 v[94:95], v[86:87], s[26:27]
	v_fma_f64 v[98:99], v[90:91], s[10:11], v[33:34]
	v_add_f64 v[68:69], v[84:85], v[68:69]
	v_add_f64 v[84:85], v[22:23], -v[18:19]
	v_fma_f64 v[33:34], v[90:91], s[10:11], -v[33:34]
	v_mul_f64 v[86:87], v[86:87], s[18:19]
	v_add_f64 v[64:65], v[64:65], v[78:79]
	v_add_f64 v[70:71], v[88:89], v[70:71]
	v_fma_f64 v[78:79], v[90:91], s[4:5], v[94:95]
	v_add_f64 v[88:89], v[16:17], v[20:21]
	v_add_f64 v[66:67], v[96:97], v[66:67]
	v_add_f64 v[80:81], v[98:99], v[80:81]
	v_add_f64 v[33:34], v[33:34], v[74:75]
	v_fma_f64 v[74:75], v[90:91], s[4:5], -v[94:95]
	v_mul_f64 v[94:95], v[84:85], s[36:37]
	v_mul_f64 v[96:97], v[84:85], s[16:17]
	v_fma_f64 v[98:99], v[90:91], s[20:21], v[86:87]
	v_fma_f64 v[86:87], v[90:91], s[20:21], -v[86:87]
	v_add_f64 v[78:79], v[78:79], v[82:83]
	v_mul_f64 v[82:83], v[84:85], s[34:35]
	s_mov_b32 s43, 0x3fcea1e5
	v_add_f64 v[52:53], v[74:75], v[52:53]
	v_fma_f64 v[74:75], v[88:89], s[20:21], v[94:95]
	v_fma_f64 v[94:95], v[88:89], s[20:21], -v[94:95]
	v_fma_f64 v[90:91], v[88:89], s[6:7], v[96:97]
	v_add_f64 v[26:27], v[86:87], v[26:27]
	v_mul_f64 v[86:87], v[84:85], s[30:31]
	s_mov_b32 s42, s24
	v_fma_f64 v[96:97], v[88:89], s[6:7], -v[96:97]
	v_fma_f64 v[100:101], v[88:89], s[10:11], v[82:83]
	v_add_f64 v[66:67], v[74:75], v[66:67]
	v_add_f64 v[68:69], v[94:95], v[68:69]
	v_fma_f64 v[74:75], v[88:89], s[10:11], -v[82:83]
	v_mul_f64 v[82:83], v[84:85], s[42:43]
	v_add_f64 v[94:95], v[10:11], -v[14:15]
	s_mov_b32 s39, 0x3fea55e2
	s_mov_b32 s38, s26
	v_add_f64 v[28:29], v[90:91], v[28:29]
	v_fma_f64 v[90:91], v[88:89], s[2:3], v[86:87]
	v_fma_f64 v[86:87], v[88:89], s[2:3], -v[86:87]
	v_mul_f64 v[84:85], v[84:85], s[38:39]
	v_add_f64 v[76:77], v[98:99], v[76:77]
	v_add_f64 v[30:31], v[96:97], v[30:31]
	;; [unrolled: 1-line block ×3, first 2 shown]
	v_fma_f64 v[74:75], v[88:89], s[22:23], v[82:83]
	v_add_f64 v[96:97], v[8:9], v[12:13]
	v_mul_f64 v[98:99], v[94:95], s[18:19]
	v_add_f64 v[80:81], v[90:91], v[80:81]
	v_fma_f64 v[82:83], v[88:89], s[22:23], -v[82:83]
	v_add_f64 v[33:34], v[86:87], v[33:34]
	v_fma_f64 v[86:87], v[88:89], s[4:5], v[84:85]
	v_mul_f64 v[90:91], v[94:95], s[28:29]
	v_fma_f64 v[84:85], v[88:89], s[4:5], -v[84:85]
	v_add_f64 v[74:75], v[74:75], v[78:79]
	v_fma_f64 v[78:79], v[96:97], s[20:21], v[98:99]
	v_mul_f64 v[88:89], v[94:95], s[26:27]
	v_add_f64 v[52:53], v[82:83], v[52:53]
	v_fma_f64 v[82:83], v[96:97], s[20:21], -v[98:99]
	v_add_f64 v[76:77], v[86:87], v[76:77]
	v_fma_f64 v[86:87], v[96:97], s[2:3], v[90:91]
	v_add_f64 v[26:27], v[84:85], v[26:27]
	v_fma_f64 v[84:85], v[96:97], s[2:3], -v[90:91]
	v_add_f64 v[24:25], v[4:5], v[24:25]
	v_add_f64 v[64:65], v[100:101], v[64:65]
	v_add_f64 v[28:29], v[78:79], v[28:29]
	v_fma_f64 v[78:79], v[96:97], s[4:5], v[88:89]
	v_mul_f64 v[90:91], v[94:95], s[42:43]
	v_add_f64 v[30:31], v[82:83], v[30:31]
	v_fma_f64 v[82:83], v[96:97], s[4:5], -v[88:89]
	v_add_f64 v[66:67], v[86:87], v[66:67]
	v_mul_f64 v[86:87], v[94:95], s[34:35]
	v_add_f64 v[68:69], v[84:85], v[68:69]
	v_add_f64 v[84:85], v[2:3], -v[6:7]
	v_add_f64 v[24:25], v[12:13], v[24:25]
	v_add_f64 v[64:65], v[78:79], v[64:65]
	v_fma_f64 v[78:79], v[96:97], s[22:23], v[90:91]
	v_mul_f64 v[88:89], v[94:95], s[16:17]
	v_add_f64 v[70:71], v[82:83], v[70:71]
	v_fma_f64 v[82:83], v[96:97], s[22:23], -v[90:91]
	v_fma_f64 v[90:91], v[96:97], s[10:11], v[86:87]
	v_add_f64 v[94:95], v[0:1], v[4:5]
	v_mul_f64 v[98:99], v[84:85], s[24:25]
	v_fma_f64 v[86:87], v[96:97], s[10:11], -v[86:87]
	v_add_f64 v[24:25], v[16:17], v[24:25]
	v_add_f64 v[78:79], v[78:79], v[80:81]
	v_fma_f64 v[80:81], v[96:97], s[6:7], v[88:89]
	v_fma_f64 v[88:89], v[96:97], s[6:7], -v[88:89]
	v_mul_f64 v[96:97], v[84:85], s[34:35]
	v_add_f64 v[33:34], v[82:83], v[33:34]
	v_fma_f64 v[82:83], v[94:95], s[22:23], v[98:99]
	v_add_f64 v[52:53], v[86:87], v[52:53]
	v_fma_f64 v[86:87], v[94:95], s[22:23], -v[98:99]
	v_add_f64 v[24:25], v[40:41], v[24:25]
	v_add_f64 v[74:75], v[90:91], v[74:75]
	;; [unrolled: 1-line block ×3, first 2 shown]
	v_fma_f64 v[88:89], v[94:95], s[10:11], v[96:97]
	v_fma_f64 v[90:91], v[94:95], s[10:11], -v[96:97]
	v_mul_f64 v[96:97], v[84:85], s[18:19]
	v_add_f64 v[76:77], v[80:81], v[76:77]
	v_add_f64 v[28:29], v[82:83], v[28:29]
	v_mul_f64 v[82:83], v[84:85], s[38:39]
	v_add_f64 v[80:81], v[86:87], v[30:31]
	v_mul_f64 v[30:31], v[84:85], s[16:17]
	v_mul_f64 v[84:85], v[84:85], s[28:29]
	v_add_f64 v[24:25], v[48:49], v[24:25]
	v_fma_f64 v[86:87], v[94:95], s[20:21], v[96:97]
	v_add_f64 v[66:67], v[88:89], v[66:67]
	v_add_f64 v[68:69], v[90:91], v[68:69]
	v_fma_f64 v[88:89], v[94:95], s[20:21], -v[96:97]
	v_fma_f64 v[90:91], v[94:95], s[4:5], v[82:83]
	v_fma_f64 v[82:83], v[94:95], s[4:5], -v[82:83]
	v_fma_f64 v[96:97], v[94:95], s[6:7], v[30:31]
	v_fma_f64 v[98:99], v[94:95], s[2:3], v[84:85]
	v_fma_f64 v[84:85], v[94:95], s[2:3], -v[84:85]
	v_fma_f64 v[30:31], v[94:95], s[6:7], -v[30:31]
	v_add_f64 v[24:25], v[60:61], v[24:25]
	v_add_f64 v[64:65], v[86:87], v[64:65]
	;; [unrolled: 1-line block ×9, first 2 shown]
	v_lshl_add_u32 v35, v32, 3, 0
	s_movk_i32 s0, 0x68
	v_mad_u32_u24 v74, v180, s0, v35
	s_movk_i32 s0, 0xffa0
	v_mad_i32_i24 v109, v180, s0, v74
	ds_write2_b64 v74, v[24:25], v[28:29] offset1:1
	ds_write2_b64 v74, v[66:67], v[64:65] offset0:2 offset1:3
	ds_write2_b64 v74, v[78:79], v[82:83] offset0:4 offset1:5
	;; [unrolled: 1-line block ×5, first 2 shown]
	ds_write_b64 v74, v[80:81] offset:96
	v_lshl_add_u32 v110, v180, 3, v35
	v_add_u32_e32 v75, 0x400, v109
	v_add_u32_e32 v76, 0x800, v109
	;; [unrolled: 1-line block ×4, first 2 shown]
	v_lshl_add_u32 v95, v72, 3, v35
	s_waitcnt lgkmcnt(0)
	s_barrier
	ds_read_b64 v[82:83], v110
	ds_read2_b64 v[64:67], v75 offset0:93 offset1:161
	ds_read2_b64 v[24:27], v76 offset0:101 offset1:186
	ds_read2_b64 v[68:71], v77 offset0:151 offset1:219
	v_lshl_add_u32 v79, v73, 3, v35
	ds_read2_b64 v[28:31], v94 offset0:126 offset1:194
	ds_read_b64 v[84:85], v95
	ds_read_b64 v[86:87], v79
	ds_read_b64 v[88:89], v109 offset:6392
	v_cmp_gt_u32_e64 s[0:1], 17, v180
	v_lshlrev_b32_e32 v78, 3, v108
	v_lshlrev_b32_e32 v111, 3, v32
                                        ; implicit-def: $vgpr32_vgpr33
                                        ; implicit-def: $vgpr90_vgpr91
	s_and_saveexec_b64 s[46:47], s[0:1]
	s_cbranch_execz .LBB0_14
; %bb.13:
	v_add_u32_e32 v32, 0xd00, v109
	v_add3_u32 v52, 0, v78, v111
	ds_read2_b64 v[32:35], v32 offset0:9 offset1:230
	ds_read_b64 v[80:81], v52
	ds_read_b64 v[90:91], v109 offset:6936
.LBB0_14:
	s_or_b64 exec, exec, s[46:47]
	v_add_f64 v[52:53], v[58:59], v[54:55]
	v_add_f64 v[56:57], v[56:57], -v[60:61]
	v_add_f64 v[58:59], v[58:59], v[62:63]
	v_add_f64 v[44:45], v[44:45], -v[48:49]
	v_add_f64 v[36:37], v[36:37], -v[40:41]
	;; [unrolled: 1-line block ×5, first 2 shown]
	v_add_f64 v[52:53], v[46:47], v[52:53]
	v_mul_f64 v[60:61], v[56:57], s[40:41]
	v_mul_f64 v[96:97], v[56:57], s[26:27]
	;; [unrolled: 1-line block ×6, first 2 shown]
	v_add_f64 v[46:47], v[46:47], v[50:51]
	v_add_f64 v[52:53], v[38:39], v[52:53]
	v_mul_f64 v[48:49], v[44:45], s[26:27]
	v_fma_f64 v[98:99], v[58:59], s[4:5], -v[96:97]
	v_fma_f64 v[96:97], v[58:59], s[4:5], v[96:97]
	v_fma_f64 v[102:103], v[58:59], s[2:3], -v[100:101]
	v_fma_f64 v[100:101], v[58:59], s[2:3], v[100:101]
	;; [unrolled: 2-line block ×3, first 2 shown]
	v_add_f64 v[52:53], v[22:23], v[52:53]
	v_fma_f64 v[114:115], v[58:59], s[20:21], -v[112:113]
	v_fma_f64 v[112:113], v[58:59], s[20:21], v[112:113]
	v_fma_f64 v[116:117], v[58:59], s[22:23], -v[56:57]
	v_fma_f64 v[56:57], v[58:59], s[22:23], v[56:57]
	v_add_f64 v[98:99], v[98:99], v[54:55]
	v_add_f64 v[96:97], v[96:97], v[54:55]
	;; [unrolled: 1-line block ×12, first 2 shown]
	v_mul_f64 v[40:41], v[36:37], s[30:31]
	v_mul_f64 v[20:21], v[16:17], s[16:17]
	v_add_f64 v[10:11], v[10:11], v[14:15]
	v_mul_f64 v[12:13], v[8:9], s[18:19]
	v_add_f64 v[2:3], v[2:3], v[6:7]
	v_mul_f64 v[4:5], v[0:1], s[24:25]
	s_waitcnt lgkmcnt(0)
	v_add_f64 v[52:53], v[6:7], v[52:53]
	s_barrier
	v_fma_f64 v[6:7], v[2:3], s[22:23], -v[4:5]
	v_fma_f64 v[4:5], v[2:3], s[22:23], v[4:5]
	v_add_f64 v[52:53], v[14:15], v[52:53]
	v_fma_f64 v[14:15], v[10:11], s[20:21], -v[12:13]
	v_fma_f64 v[12:13], v[10:11], s[20:21], v[12:13]
	v_add_f64 v[52:53], v[18:19], v[52:53]
	v_add_f64 v[18:19], v[18:19], v[22:23]
	;; [unrolled: 1-line block ×3, first 2 shown]
	v_fma_f64 v[42:43], v[38:39], s[2:3], -v[40:41]
	v_fma_f64 v[40:41], v[38:39], s[2:3], v[40:41]
	v_fma_f64 v[22:23], v[18:19], s[6:7], -v[20:21]
	v_fma_f64 v[20:21], v[18:19], s[6:7], v[20:21]
	v_add_f64 v[52:53], v[50:51], v[52:53]
	v_fma_f64 v[50:51], v[46:47], s[4:5], -v[48:49]
	v_fma_f64 v[48:49], v[46:47], s[4:5], v[48:49]
	v_add_f64 v[52:53], v[62:63], v[52:53]
	;; [unrolled: 3-line block ×3, first 2 shown]
	v_add_f64 v[60:61], v[60:61], v[54:55]
	v_add_f64 v[54:55], v[56:57], v[54:55]
	v_mul_f64 v[56:57], v[44:45], s[16:17]
	v_add_f64 v[50:51], v[50:51], v[62:63]
	v_add_f64 v[48:49], v[48:49], v[60:61]
	v_mul_f64 v[60:61], v[44:45], s[24:25]
	v_fma_f64 v[58:59], v[46:47], s[6:7], -v[56:57]
	v_fma_f64 v[56:57], v[46:47], s[6:7], v[56:57]
	v_add_f64 v[42:43], v[42:43], v[50:51]
	v_add_f64 v[40:41], v[40:41], v[48:49]
	v_fma_f64 v[62:63], v[46:47], s[22:23], -v[60:61]
	v_fma_f64 v[60:61], v[46:47], s[22:23], v[60:61]
	v_add_f64 v[56:57], v[56:57], v[96:97]
	v_mul_f64 v[96:97], v[44:45], s[36:37]
	v_add_f64 v[58:59], v[58:59], v[98:99]
	v_mul_f64 v[50:51], v[36:37], s[44:45]
	v_add_f64 v[22:23], v[22:23], v[42:43]
	v_add_f64 v[20:21], v[20:21], v[40:41]
	v_add_f64 v[62:63], v[62:63], v[102:103]
	v_add_f64 v[60:61], v[60:61], v[100:101]
	v_mul_f64 v[100:101], v[44:45], s[28:29]
	v_fma_f64 v[98:99], v[46:47], s[20:21], -v[96:97]
	v_fma_f64 v[96:97], v[46:47], s[20:21], v[96:97]
	v_mul_f64 v[44:45], v[44:45], s[34:35]
	v_mul_f64 v[42:43], v[16:17], s[34:35]
	v_add_f64 v[14:15], v[14:15], v[22:23]
	v_add_f64 v[12:13], v[12:13], v[20:21]
	v_mul_f64 v[22:23], v[8:9], s[26:27]
	v_fma_f64 v[102:103], v[46:47], s[2:3], -v[100:101]
	v_fma_f64 v[100:101], v[46:47], s[2:3], v[100:101]
	v_add_f64 v[96:97], v[96:97], v[104:105]
	v_fma_f64 v[104:105], v[46:47], s[10:11], -v[44:45]
	v_fma_f64 v[44:45], v[46:47], s[10:11], v[44:45]
	v_mul_f64 v[46:47], v[36:37], s[24:25]
	v_add_f64 v[98:99], v[98:99], v[106:107]
	v_add_f64 v[6:7], v[6:7], v[14:15]
	;; [unrolled: 1-line block ×6, first 2 shown]
	v_fma_f64 v[48:49], v[38:39], s[22:23], -v[46:47]
	v_fma_f64 v[46:47], v[38:39], s[22:23], v[46:47]
	v_fma_f64 v[54:55], v[38:39], s[6:7], -v[50:51]
	v_fma_f64 v[50:51], v[38:39], s[6:7], v[50:51]
	v_add_f64 v[48:49], v[48:49], v[58:59]
	v_add_f64 v[46:47], v[46:47], v[56:57]
	v_mul_f64 v[56:57], v[36:37], s[34:35]
	v_add_f64 v[50:51], v[50:51], v[60:61]
	v_mul_f64 v[60:61], v[36:37], s[26:27]
	v_mul_f64 v[36:37], v[36:37], s[18:19]
	v_add_f64 v[54:55], v[54:55], v[62:63]
	v_fma_f64 v[58:59], v[38:39], s[10:11], -v[56:57]
	v_fma_f64 v[56:57], v[38:39], s[10:11], v[56:57]
	v_fma_f64 v[62:63], v[38:39], s[4:5], -v[60:61]
	v_fma_f64 v[60:61], v[38:39], s[4:5], v[60:61]
	v_add_f64 v[58:59], v[58:59], v[98:99]
	v_add_f64 v[56:57], v[56:57], v[96:97]
	v_fma_f64 v[96:97], v[38:39], s[20:21], -v[36:37]
	v_fma_f64 v[36:37], v[38:39], s[20:21], v[36:37]
	v_mul_f64 v[38:39], v[16:17], s[36:37]
	v_add_f64 v[62:63], v[62:63], v[102:103]
	v_add_f64 v[60:61], v[60:61], v[100:101]
	;; [unrolled: 1-line block ×4, first 2 shown]
	v_fma_f64 v[40:41], v[18:19], s[20:21], -v[38:39]
	v_fma_f64 v[38:39], v[18:19], s[20:21], v[38:39]
	v_fma_f64 v[44:45], v[18:19], s[10:11], -v[42:43]
	v_fma_f64 v[42:43], v[18:19], s[10:11], v[42:43]
	v_add_f64 v[40:41], v[40:41], v[48:49]
	v_add_f64 v[38:39], v[38:39], v[46:47]
	v_mul_f64 v[46:47], v[16:17], s[30:31]
	v_add_f64 v[42:43], v[42:43], v[50:51]
	v_mul_f64 v[50:51], v[16:17], s[42:43]
	v_mul_f64 v[16:17], v[16:17], s[38:39]
	v_add_f64 v[44:45], v[44:45], v[54:55]
	v_fma_f64 v[48:49], v[18:19], s[2:3], -v[46:47]
	v_fma_f64 v[46:47], v[18:19], s[2:3], v[46:47]
	v_fma_f64 v[54:55], v[18:19], s[22:23], -v[50:51]
	v_fma_f64 v[50:51], v[18:19], s[22:23], v[50:51]
	v_add_f64 v[48:49], v[48:49], v[58:59]
	v_add_f64 v[46:47], v[46:47], v[56:57]
	v_fma_f64 v[56:57], v[18:19], s[4:5], -v[16:17]
	v_fma_f64 v[16:17], v[18:19], s[4:5], v[16:17]
	v_mul_f64 v[18:19], v[8:9], s[28:29]
	v_add_f64 v[54:55], v[54:55], v[62:63]
	v_add_f64 v[62:63], v[4:5], v[12:13]
	v_mul_f64 v[4:5], v[0:1], s[34:35]
	v_mul_f64 v[12:13], v[0:1], s[18:19]
	v_add_f64 v[50:51], v[50:51], v[60:61]
	v_add_f64 v[56:57], v[56:57], v[96:97]
	;; [unrolled: 1-line block ×3, first 2 shown]
	v_fma_f64 v[20:21], v[10:11], s[2:3], -v[18:19]
	v_fma_f64 v[18:19], v[10:11], s[2:3], v[18:19]
	v_fma_f64 v[36:37], v[10:11], s[4:5], -v[22:23]
	v_fma_f64 v[22:23], v[10:11], s[4:5], v[22:23]
	;; [unrolled: 2-line block ×3, first 2 shown]
	v_add_f64 v[20:21], v[20:21], v[40:41]
	v_add_f64 v[18:19], v[18:19], v[38:39]
	v_mul_f64 v[38:39], v[8:9], s[42:43]
	v_add_f64 v[22:23], v[22:23], v[42:43]
	v_mul_f64 v[42:43], v[8:9], s[34:35]
	v_mul_f64 v[8:9], v[8:9], s[16:17]
	v_add_f64 v[36:37], v[36:37], v[44:45]
	v_fma_f64 v[40:41], v[10:11], s[22:23], -v[38:39]
	v_fma_f64 v[38:39], v[10:11], s[22:23], v[38:39]
	v_fma_f64 v[44:45], v[10:11], s[10:11], -v[42:43]
	v_fma_f64 v[42:43], v[10:11], s[10:11], v[42:43]
	v_add_f64 v[12:13], v[12:13], v[22:23]
	v_add_f64 v[14:15], v[14:15], v[36:37]
	;; [unrolled: 1-line block ×4, first 2 shown]
	v_fma_f64 v[46:47], v[10:11], s[6:7], -v[8:9]
	v_fma_f64 v[8:9], v[10:11], s[6:7], v[8:9]
	v_fma_f64 v[10:11], v[2:3], s[10:11], -v[4:5]
	v_fma_f64 v[4:5], v[2:3], s[10:11], v[4:5]
	v_add_f64 v[44:45], v[44:45], v[54:55]
	v_add_f64 v[42:43], v[42:43], v[50:51]
                                        ; implicit-def: $vgpr50_vgpr51
	v_add_f64 v[46:47], v[46:47], v[56:57]
	v_add_f64 v[8:9], v[8:9], v[16:17]
	;; [unrolled: 1-line block ×3, first 2 shown]
	v_mul_f64 v[16:17], v[0:1], s[38:39]
	v_mul_f64 v[20:21], v[0:1], s[16:17]
	;; [unrolled: 1-line block ×3, first 2 shown]
	v_add_f64 v[4:5], v[4:5], v[18:19]
	v_fma_f64 v[18:19], v[2:3], s[4:5], -v[16:17]
	v_fma_f64 v[22:23], v[2:3], s[6:7], -v[20:21]
	;; [unrolled: 1-line block ×3, first 2 shown]
	v_fma_f64 v[0:1], v[2:3], s[2:3], v[0:1]
	v_fma_f64 v[16:17], v[2:3], s[4:5], v[16:17]
	;; [unrolled: 1-line block ×3, first 2 shown]
	v_add_f64 v[18:19], v[18:19], v[40:41]
	v_add_f64 v[22:23], v[22:23], v[44:45]
	;; [unrolled: 1-line block ×6, first 2 shown]
	ds_write2_b64 v74, v[52:53], v[6:7] offset1:1
	ds_write2_b64 v74, v[10:11], v[14:15] offset0:2 offset1:3
	ds_write2_b64 v74, v[18:19], v[22:23] offset0:4 offset1:5
	;; [unrolled: 1-line block ×5, first 2 shown]
	ds_write_b64 v74, v[62:63] offset:96
	s_waitcnt lgkmcnt(0)
	s_barrier
	ds_read_b64 v[96:97], v110
	ds_read2_b64 v[4:7], v75 offset0:93 offset1:161
	ds_read2_b64 v[42:45], v76 offset0:101 offset1:186
	;; [unrolled: 1-line block ×3, first 2 shown]
	ds_read_b64 v[100:101], v79
	ds_read2_b64 v[46:49], v94 offset0:126 offset1:194
	ds_read_b64 v[98:99], v95
	ds_read_b64 v[8:9], v109 offset:6392
                                        ; implicit-def: $vgpr10_vgpr11
	s_and_saveexec_b64 s[2:3], s[0:1]
	s_cbranch_execz .LBB0_16
; %bb.15:
	v_add3_u32 v10, 0, v78, v111
	v_add_u32_e32 v11, 0xd00, v109
	ds_read2_b64 v[50:53], v11 offset0:9 offset1:230
	ds_read_b64 v[62:63], v10
	ds_read_b64 v[10:11], v109 offset:6936
.LBB0_16:
	s_or_b64 exec, exec, s[2:3]
	s_movk_i32 s4, 0x4f
	v_mul_lo_u16_sdwa v12, v180, s4 dst_sel:DWORD dst_unused:UNUSED_PAD src0_sel:BYTE_0 src1_sel:DWORD
	v_mul_lo_u16_sdwa v16, v73, s4 dst_sel:DWORD dst_unused:UNUSED_PAD src0_sel:BYTE_0 src1_sel:DWORD
	v_lshrrev_b16_e32 v40, 10, v12
	v_lshrrev_b16_e32 v95, 10, v16
	v_mul_lo_u16_e32 v12, 13, v40
	v_mul_lo_u16_e32 v16, 13, v95
	v_sub_u16_e32 v41, v180, v12
	v_mov_b32_e32 v94, 3
	v_sub_u16_e32 v102, v73, v16
	v_mul_u32_u24_sdwa v12, v41, v94 dst_sel:DWORD dst_unused:UNUSED_PAD src0_sel:BYTE_0 src1_sel:DWORD
	v_mul_u32_u24_sdwa v16, v102, v94 dst_sel:DWORD dst_unused:UNUSED_PAD src0_sel:BYTE_0 src1_sel:DWORD
	v_lshlrev_b32_e32 v74, 4, v12
	v_lshlrev_b32_e32 v73, 4, v16
	s_movk_i32 s2, 0x4ec5
	global_load_dwordx4 v[54:57], v74, s[8:9] offset:16
	global_load_dwordx4 v[12:15], v74, s[8:9]
	global_load_dwordx4 v[16:19], v73, s[8:9] offset:32
	global_load_dwordx4 v[58:61], v73, s[8:9] offset:16
	;; [unrolled: 1-line block ×3, first 2 shown]
	global_load_dwordx4 v[36:39], v73, s[8:9]
	v_mul_lo_u16_sdwa v73, v72, s4 dst_sel:DWORD dst_unused:UNUSED_PAD src0_sel:BYTE_0 src1_sel:DWORD
	v_mul_u32_u24_sdwa v77, v108, s2 dst_sel:DWORD dst_unused:UNUSED_PAD src0_sel:WORD_0 src1_sel:DWORD
	v_lshrrev_b16_e32 v103, 10, v73
	v_lshrrev_b32_e32 v77, 18, v77
	v_mul_lo_u16_e32 v73, 13, v103
	v_mul_lo_u16_e32 v77, 13, v77
	v_sub_u16_e32 v112, v72, v73
	v_sub_u16_e32 v147, v108, v77
	v_mul_u32_u24_sdwa v72, v112, v94 dst_sel:DWORD dst_unused:UNUSED_PAD src0_sel:BYTE_0 src1_sel:DWORD
	v_mul_u32_u24_e32 v77, 3, v147
	v_lshlrev_b32_e32 v76, 4, v72
	v_lshlrev_b32_e32 v113, 4, v77
	global_load_dwordx4 v[72:75], v76, s[8:9] offset:16
	global_load_dwordx4 v[104:107], v76, s[8:9]
	global_load_dwordx4 v[115:118], v76, s[8:9] offset:32
	global_load_dwordx4 v[119:122], v113, s[8:9]
	s_nop 0
	global_load_dwordx4 v[76:79], v113, s[8:9] offset:16
	global_load_dwordx4 v[123:126], v113, s[8:9] offset:32
	s_movk_i32 s5, 0x1a0
	v_mad_u32_u24 v40, v40, s5, 0
	v_mad_u32_u24 v95, v95, s5, 0
	;; [unrolled: 1-line block ×3, first 2 shown]
	v_lshlrev_b32_sdwa v41, v94, v41 dst_sel:DWORD dst_unused:UNUSED_PAD src0_sel:DWORD src1_sel:BYTE_0
	v_lshlrev_b32_sdwa v102, v94, v102 dst_sel:DWORD dst_unused:UNUSED_PAD src0_sel:DWORD src1_sel:BYTE_0
	;; [unrolled: 1-line block ×3, first 2 shown]
	v_add3_u32 v113, v40, v41, v111
	v_add3_u32 v112, v95, v102, v111
	;; [unrolled: 1-line block ×3, first 2 shown]
	s_waitcnt vmcnt(0) lgkmcnt(0)
	s_barrier
	v_mul_f64 v[133:134], v[2:3], v[18:19]
	v_mul_f64 v[94:95], v[44:45], v[56:57]
	;; [unrolled: 1-line block ×10, first 2 shown]
	v_fma_f64 v[40:41], v[64:65], v[12:13], v[40:41]
	v_fma_f64 v[102:103], v[4:5], v[12:13], -v[14:15]
	v_fma_f64 v[4:5], v[26:27], v[54:55], v[94:95]
	v_fma_f64 v[12:13], v[68:69], v[20:21], v[127:128]
	v_fma_f64 v[0:1], v[0:1], v[20:21], -v[22:23]
	v_mul_f64 v[137:138], v[48:49], v[74:75]
	v_mul_f64 v[135:136], v[42:43], v[106:107]
	;; [unrolled: 1-line block ×10, first 2 shown]
	v_fma_f64 v[14:15], v[66:67], v[36:37], v[129:130]
	v_fma_f64 v[68:69], v[6:7], v[36:37], -v[38:39]
	v_fma_f64 v[6:7], v[28:29], v[58:59], v[131:132]
	v_fma_f64 v[20:21], v[70:71], v[16:17], v[133:134]
	v_fma_f64 v[2:3], v[2:3], v[16:17], -v[18:19]
	v_fma_f64 v[16:17], v[24:25], v[104:105], v[135:136]
	v_fma_f64 v[64:65], v[42:43], v[104:105], -v[106:107]
	v_fma_f64 v[18:19], v[30:31], v[72:73], v[137:138]
	v_fma_f64 v[22:23], v[88:89], v[115:116], v[139:140]
	;; [unrolled: 1-line block ×5, first 2 shown]
	v_fma_f64 v[8:9], v[8:9], v[115:116], -v[117:118]
	v_fma_f64 v[70:71], v[50:51], v[119:120], -v[121:122]
	;; [unrolled: 1-line block ×3, first 2 shown]
	v_add_f64 v[94:95], v[82:83], -v[4:5]
	v_add_f64 v[24:25], v[40:41], -v[12:13]
	;; [unrolled: 1-line block ×12, first 2 shown]
	v_fma_f64 v[38:39], v[82:83], 2.0, -v[94:95]
	v_fma_f64 v[2:3], v[40:41], 2.0, -v[24:25]
	;; [unrolled: 1-line block ×8, first 2 shown]
	v_add_f64 v[12:13], v[94:95], v[106:107]
	v_add_f64 v[4:5], v[0:1], v[104:105]
	v_add_f64 v[10:11], v[38:39], -v[2:3]
	v_add_f64 v[18:19], v[42:43], -v[8:9]
	v_add_f64 v[40:41], v[6:7], v[88:89]
	v_add_f64 v[2:3], v[82:83], -v[14:15]
	v_add_f64 v[36:37], v[20:21], v[90:91]
	v_add_f64 v[22:23], v[80:81], -v[16:17]
	v_fma_f64 v[8:9], v[94:95], 2.0, -v[12:13]
	v_fma_f64 v[16:17], v[0:1], 2.0, -v[4:5]
	;; [unrolled: 1-line block ×8, first 2 shown]
	v_lshlrev_b32_e32 v80, 3, v147
	ds_write2_b64 v113, v[10:11], v[12:13] offset0:26 offset1:39
	ds_write2_b64 v113, v[94:95], v[8:9] offset1:13
	ds_write2_b64 v112, v[14:15], v[16:17] offset1:13
	ds_write2_b64 v112, v[18:19], v[4:5] offset0:26 offset1:39
	ds_write2_b64 v114, v[6:7], v[0:1] offset1:13
	ds_write2_b64 v114, v[2:3], v[40:41] offset0:26 offset1:39
	s_and_saveexec_b64 s[2:3], s[0:1]
	s_cbranch_execz .LBB0_18
; %bb.17:
	v_mul_lo_u16_sdwa v38, v108, s4 dst_sel:DWORD dst_unused:UNUSED_PAD src0_sel:BYTE_0 src1_sel:DWORD
	v_lshrrev_b16_e32 v38, 10, v38
	v_mad_u32_u24 v38, v38, s5, 0
	v_add3_u32 v38, v38, v80, v111
	ds_write2_b64 v38, v[42:43], v[20:21] offset1:13
	ds_write2_b64 v38, v[22:23], v[36:37] offset0:26 offset1:39
.LBB0_18:
	s_or_b64 exec, exec, s[2:3]
	v_cmp_gt_u32_e64 s[2:3], 52, v180
	s_waitcnt lgkmcnt(0)
	s_barrier
	s_and_saveexec_b64 s[4:5], s[2:3]
	s_cbranch_execz .LBB0_20
; %bb.19:
	v_add_u32_e32 v0, 0x800, v109
	ds_read_b64 v[94:95], v110
	ds_read2_b64 v[8:11], v109 offset0:52 offset1:104
	ds_read2_b64 v[12:15], v109 offset0:156 offset1:208
	;; [unrolled: 1-line block ×4, first 2 shown]
	v_add_u32_e32 v0, 0xc00, v109
	v_add_u32_e32 v20, 0x1000, v109
	;; [unrolled: 1-line block ×3, first 2 shown]
	ds_read2_b64 v[0:3], v0 offset0:84 offset1:136
	ds_read2_b64 v[40:43], v20 offset0:60 offset1:112
	;; [unrolled: 1-line block ×4, first 2 shown]
.LBB0_20:
	s_or_b64 exec, exec, s[4:5]
	v_mul_f64 v[26:27], v[26:27], v[56:57]
	v_mul_f64 v[28:29], v[28:29], v[60:61]
	;; [unrolled: 1-line block ×4, first 2 shown]
	s_waitcnt lgkmcnt(0)
	s_barrier
	v_fma_f64 v[26:27], v[44:45], v[54:55], -v[26:27]
	v_fma_f64 v[28:29], v[46:47], v[58:59], -v[28:29]
	;; [unrolled: 1-line block ×4, first 2 shown]
	v_fma_f64 v[44:45], v[68:69], 2.0, -v[104:105]
	v_fma_f64 v[52:53], v[64:65], 2.0, -v[88:89]
	v_fma_f64 v[58:59], v[70:71], 2.0, -v[90:91]
	v_add_f64 v[46:47], v[96:97], -v[26:27]
	v_add_f64 v[56:57], v[100:101], -v[28:29]
	v_add_f64 v[30:31], v[98:99], -v[30:31]
	v_add_f64 v[68:69], v[62:63], -v[34:35]
	v_fma_f64 v[26:27], v[102:103], 2.0, -v[106:107]
	v_fma_f64 v[64:65], v[96:97], 2.0, -v[46:47]
	;; [unrolled: 1-line block ×5, first 2 shown]
	v_add_f64 v[48:49], v[46:47], -v[24:25]
	v_add_f64 v[28:29], v[56:57], -v[32:33]
	;; [unrolled: 1-line block ×8, first 2 shown]
	v_fma_f64 v[52:53], v[46:47], 2.0, -v[48:49]
	v_fma_f64 v[32:33], v[56:57], 2.0, -v[28:29]
	;; [unrolled: 1-line block ×8, first 2 shown]
	ds_write2_b64 v113, v[54:55], v[48:49] offset0:26 offset1:39
	ds_write2_b64 v113, v[96:97], v[52:53] offset1:13
	ds_write2_b64 v112, v[50:51], v[32:33] offset1:13
	ds_write2_b64 v112, v[34:35], v[28:29] offset0:26 offset1:39
	ds_write2_b64 v114, v[30:31], v[24:25] offset1:13
	ds_write2_b64 v114, v[26:27], v[44:45] offset0:26 offset1:39
	s_and_saveexec_b64 s[4:5], s[0:1]
	s_cbranch_execz .LBB0_22
; %bb.21:
	s_movk_i32 s0, 0x4f
	v_mul_lo_u16_sdwa v62, v108, s0 dst_sel:DWORD dst_unused:UNUSED_PAD src0_sel:BYTE_0 src1_sel:DWORD
	v_lshrrev_b16_e32 v62, 10, v62
	s_movk_i32 s0, 0x1a0
	v_mad_u32_u24 v62, v62, s0, 0
	v_add3_u32 v62, v62, v80, v111
	ds_write2_b64 v62, v[46:47], v[56:57] offset1:13
	ds_write2_b64 v62, v[58:59], v[60:61] offset0:26 offset1:39
.LBB0_22:
	s_or_b64 exec, exec, s[4:5]
	s_waitcnt lgkmcnt(0)
	s_barrier
	s_and_saveexec_b64 s[0:1], s[2:3]
	s_cbranch_execnz .LBB0_25
; %bb.23:
	s_or_b64 exec, exec, s[0:1]
	s_and_b64 s[0:1], vcc, s[2:3]
	s_and_saveexec_b64 s[2:3], s[0:1]
	s_cbranch_execnz .LBB0_26
.LBB0_24:
	s_endpgm
.LBB0_25:
	v_add_u32_e32 v24, 0x800, v109
	ds_read_b64 v[96:97], v110
	ds_read2_b64 v[52:55], v109 offset0:52 offset1:104
	ds_read2_b64 v[48:51], v109 offset0:156 offset1:208
	;; [unrolled: 1-line block ×4, first 2 shown]
	v_add_u32_e32 v24, 0xc00, v109
	v_add_u32_e32 v56, 0x1000, v109
	;; [unrolled: 1-line block ×3, first 2 shown]
	ds_read2_b64 v[24:27], v24 offset0:84 offset1:136
	ds_read2_b64 v[44:47], v56 offset0:60 offset1:112
	;; [unrolled: 1-line block ×4, first 2 shown]
	s_or_b64 exec, exec, s[0:1]
	s_and_b64 s[0:1], vcc, s[2:3]
	s_and_saveexec_b64 s[2:3], s[0:1]
	s_cbranch_execz .LBB0_24
.LBB0_26:
	v_lshlrev_b32_e32 v64, 4, v180
	v_mov_b32_e32 v65, 0
	v_lshlrev_b64 v[64:65], 4, v[64:65]
	v_mov_b32_e32 v66, s9
	v_add_co_u32_e32 v106, vcc, s8, v64
	v_addc_co_u32_e32 v107, vcc, v66, v65, vcc
	global_load_dwordx4 v[80:83], v[106:107], off offset:736
	global_load_dwordx4 v[72:75], v[106:107], off offset:720
	global_load_dwordx4 v[64:67], v[106:107], off offset:752
	global_load_dwordx4 v[68:71], v[106:107], off offset:768
	global_load_dwordx4 v[76:79], v[106:107], off offset:704
	global_load_dwordx4 v[88:91], v[106:107], off offset:688
	global_load_dwordx4 v[84:87], v[106:107], off offset:784
	global_load_dwordx4 v[98:101], v[106:107], off offset:800
	global_load_dwordx4 v[102:105], v[106:107], off offset:672
	global_load_dwordx4 v[108:111], v[106:107], off offset:816
	global_load_dwordx4 v[112:115], v[106:107], off offset:656
	global_load_dwordx4 v[116:119], v[106:107], off offset:640
	global_load_dwordx4 v[120:123], v[106:107], off offset:624
	global_load_dwordx4 v[124:127], v[106:107], off offset:864
	global_load_dwordx4 v[128:131], v[106:107], off offset:848
	global_load_dwordx4 v[132:135], v[106:107], off offset:832
	s_mov_b32 s4, 0xacd6c6b4
	s_mov_b32 s5, 0xbfc7851a
	;; [unrolled: 1-line block ×46, first 2 shown]
	s_waitcnt vmcnt(15) lgkmcnt(4)
	v_mul_f64 v[106:107], v[30:31], v[82:83]
	v_mul_f64 v[136:137], v[6:7], v[82:83]
	s_waitcnt vmcnt(13) lgkmcnt(3)
	v_mul_f64 v[148:149], v[24:25], v[66:67]
	v_mul_f64 v[181:182], v[0:1], v[66:67]
	s_waitcnt vmcnt(12)
	v_mul_f64 v[152:153], v[26:27], v[70:71]
	v_mul_f64 v[166:167], v[2:3], v[70:71]
	s_waitcnt vmcnt(11)
	v_mul_f64 v[66:67], v[34:35], v[78:79]
	s_waitcnt vmcnt(10)
	;; [unrolled: 2-line block ×3, first 2 shown]
	v_mul_f64 v[140:141], v[50:51], v[104:105]
	v_mul_f64 v[104:105], v[14:15], v[104:105]
	s_waitcnt vmcnt(6) lgkmcnt(1)
	v_mul_f64 v[154:155], v[56:57], v[110:111]
	v_mul_f64 v[110:111], v[20:21], v[110:111]
	s_waitcnt vmcnt(3)
	v_mul_f64 v[162:163], v[52:53], v[122:123]
	s_waitcnt vmcnt(2) lgkmcnt(0)
	v_mul_f64 v[168:169], v[62:63], v[126:127]
	v_mul_f64 v[158:159], v[48:49], v[114:115]
	v_mul_f64 v[160:161], v[54:55], v[118:119]
	v_mul_f64 v[164:165], v[8:9], v[122:123]
	v_mul_f64 v[126:127], v[38:39], v[126:127]
	s_waitcnt vmcnt(1)
	v_mul_f64 v[172:173], v[60:61], v[130:131]
	v_fma_f64 v[150:151], v[50:51], v[102:103], -v[104:105]
	v_fma_f64 v[162:163], v[8:9], v[120:121], v[162:163]
	v_fma_f64 v[50:51], v[38:39], v[124:125], v[168:169]
	v_mul_f64 v[142:143], v[28:29], v[74:75]
	v_mul_f64 v[144:145], v[4:5], v[74:75]
	;; [unrolled: 1-line block ×9, first 2 shown]
	s_waitcnt vmcnt(0)
	v_mul_f64 v[176:177], v[58:59], v[134:135]
	v_fma_f64 v[82:83], v[6:7], v[80:81], v[106:107]
	v_fma_f64 v[106:107], v[18:19], v[76:77], v[66:67]
	;; [unrolled: 1-line block ×4, first 2 shown]
	v_fma_f64 v[70:71], v[56:57], v[108:109], -v[110:111]
	v_fma_f64 v[154:155], v[12:13], v[112:113], v[158:159]
	v_fma_f64 v[174:175], v[52:53], v[120:121], -v[164:165]
	v_fma_f64 v[52:53], v[62:63], v[124:125], -v[126:127]
	v_fma_f64 v[158:159], v[10:11], v[116:117], v[160:161]
	v_fma_f64 v[56:57], v[36:37], v[128:129], v[172:173]
	v_add_f64 v[178:179], v[162:163], -v[50:51]
	v_mul_f64 v[170:171], v[40:41], v[86:87]
	v_mul_f64 v[114:115], v[12:13], v[114:115]
	v_mul_f64 v[134:135], v[22:23], v[134:135]
	v_fma_f64 v[86:87], v[30:31], v[80:81], -v[136:137]
	v_fma_f64 v[80:81], v[40:41], v[84:85], v[78:79]
	v_fma_f64 v[78:79], v[46:47], v[98:99], -v[100:101]
	v_fma_f64 v[146:147], v[14:15], v[102:103], v[140:141]
	v_fma_f64 v[164:165], v[54:55], v[116:117], -v[118:119]
	v_fma_f64 v[54:55], v[60:61], v[128:129], -v[130:131]
	v_fma_f64 v[60:61], v[22:23], v[132:133], v[176:177]
	v_add_f64 v[140:141], v[174:175], -v[52:53]
	v_add_f64 v[46:47], v[158:159], -v[56:57]
	v_add_f64 v[124:125], v[174:175], v[52:53]
	v_mul_f64 v[6:7], v[178:179], s[4:5]
	v_fma_f64 v[160:161], v[48:49], v[112:113], -v[114:115]
	v_fma_f64 v[48:49], v[58:59], v[132:133], -v[134:135]
	v_add_f64 v[132:133], v[164:165], -v[54:55]
	v_add_f64 v[112:113], v[162:163], v[50:51]
	v_add_f64 v[176:177], v[154:155], -v[60:61]
	v_add_f64 v[116:117], v[164:165], v[54:55]
	v_mul_f64 v[8:9], v[140:141], s[4:5]
	v_mul_f64 v[10:11], v[46:47], s[20:21]
	v_fma_f64 v[12:13], v[124:125], s[0:1], v[6:7]
	v_fma_f64 v[138:139], v[32:33], v[88:89], -v[74:75]
	v_fma_f64 v[74:75], v[42:43], v[98:99], v[90:91]
	v_add_f64 v[118:119], v[160:161], -v[48:49]
	v_add_f64 v[98:99], v[158:159], v[56:57]
	v_add_f64 v[102:103], v[160:161], v[48:49]
	v_add_f64 v[172:173], v[146:147], -v[66:67]
	v_mul_f64 v[14:15], v[132:133], s[20:21]
	v_mul_f64 v[16:17], v[176:177], s[2:3]
	v_fma_f64 v[18:19], v[112:113], s[0:1], -v[8:9]
	v_fma_f64 v[20:21], v[116:117], s[6:7], v[10:11]
	v_add_f64 v[12:13], v[96:97], v[12:13]
	v_add_f64 v[90:91], v[154:155], v[60:61]
	;; [unrolled: 1-line block ×3, first 2 shown]
	v_add_f64 v[110:111], v[150:151], -v[70:71]
	v_add_f64 v[168:169], v[122:123], -v[74:75]
	v_mul_f64 v[22:23], v[118:119], s[2:3]
	v_mul_f64 v[30:31], v[172:173], s[38:39]
	v_fma_f64 v[32:33], v[98:99], s[6:7], -v[14:15]
	v_fma_f64 v[36:37], v[102:103], s[8:9], v[16:17]
	v_add_f64 v[18:19], v[94:95], v[18:19]
	v_add_f64 v[12:13], v[20:21], v[12:13]
	;; [unrolled: 1-line block ×4, first 2 shown]
	v_mul_f64 v[20:21], v[110:111], s[38:39]
	v_mul_f64 v[38:39], v[168:169], s[16:17]
	v_fma_f64 v[40:41], v[90:91], s[8:9], -v[22:23]
	v_fma_f64 v[42:43], v[100:101], s[18:19], v[30:31]
	v_add_f64 v[18:19], v[32:33], v[18:19]
	v_add_f64 v[12:13], v[36:37], v[12:13]
	v_fma_f64 v[136:137], v[4:5], v[72:73], v[142:143]
	v_fma_f64 v[156:157], v[34:35], v[76:77], -v[156:157]
	v_fma_f64 v[58:59], v[44:45], v[84:85], -v[170:171]
	v_add_f64 v[170:171], v[106:107], -v[80:81]
	v_fma_f64 v[4:5], v[62:63], s[18:19], -v[20:21]
	v_fma_f64 v[32:33], v[88:89], s[10:11], v[38:39]
	v_add_f64 v[18:19], v[40:41], v[18:19]
	v_add_f64 v[12:13], v[42:43], v[12:13]
	v_fma_f64 v[104:105], v[2:3], v[68:69], v[152:153]
	v_add_f64 v[120:121], v[138:139], -v[78:79]
	v_fma_f64 v[152:153], v[28:29], v[72:73], -v[144:145]
	v_fma_f64 v[126:127], v[26:27], v[68:69], -v[166:167]
	v_add_f64 v[68:69], v[156:157], v[58:59]
	v_mul_f64 v[26:27], v[170:171], s[34:35]
	v_add_f64 v[2:3], v[4:5], v[18:19]
	v_add_f64 v[4:5], v[32:33], v[12:13]
	v_add_f64 v[166:167], v[136:137], -v[104:105]
	v_add_f64 v[84:85], v[122:123], v[74:75]
	v_mul_f64 v[12:13], v[120:121], s[16:17]
	v_add_f64 v[108:109], v[156:157], -v[58:59]
	v_add_f64 v[72:73], v[152:153], v[126:127]
	v_fma_f64 v[18:19], v[68:69], s[26:27], v[26:27]
	v_add_f64 v[76:77], v[106:107], v[80:81]
	v_add_f64 v[114:115], v[152:153], -v[126:127]
	v_mul_f64 v[28:29], v[166:167], s[24:25]
	v_fma_f64 v[142:143], v[0:1], v[64:65], v[148:149]
	v_fma_f64 v[32:33], v[84:85], s[10:11], -v[12:13]
	v_mul_f64 v[34:35], v[108:109], s[34:35]
	v_fma_f64 v[148:149], v[24:25], v[64:65], -v[181:182]
	v_add_f64 v[0:1], v[18:19], v[4:5]
	v_add_f64 v[64:65], v[136:137], v[104:105]
	v_fma_f64 v[6:7], v[124:125], s[0:1], -v[6:7]
	v_fma_f64 v[4:5], v[72:73], s[22:23], v[28:29]
	v_mul_f64 v[24:25], v[114:115], s[24:25]
	v_add_f64 v[2:3], v[32:33], v[2:3]
	v_fma_f64 v[18:19], v[76:77], s[26:27], -v[34:35]
	v_add_f64 v[144:145], v[82:83], -v[142:143]
	v_add_f64 v[134:135], v[86:87], -v[148:149]
	v_add_f64 v[130:131], v[86:87], v[148:149]
	v_add_f64 v[6:7], v[96:97], v[6:7]
	;; [unrolled: 1-line block ×3, first 2 shown]
	v_fma_f64 v[4:5], v[116:117], s[6:7], -v[10:11]
	v_fma_f64 v[10:11], v[64:65], s[22:23], -v[24:25]
	v_add_f64 v[2:3], v[18:19], v[2:3]
	v_mul_f64 v[18:19], v[144:145], s[50:51]
	v_add_f64 v[128:129], v[82:83], v[142:143]
	v_mul_f64 v[32:33], v[134:135], s[50:51]
	v_fma_f64 v[14:15], v[98:99], s[6:7], v[14:15]
	v_mul_f64 v[42:43], v[46:47], s[34:35]
	v_add_f64 v[4:5], v[4:5], v[6:7]
	v_fma_f64 v[6:7], v[102:103], s[8:9], -v[16:17]
	v_add_f64 v[10:11], v[10:11], v[2:3]
	v_fma_f64 v[2:3], v[112:113], s[0:1], v[8:9]
	v_mul_f64 v[8:9], v[178:179], s[2:3]
	v_fma_f64 v[16:17], v[130:131], s[28:29], v[18:19]
	v_fma_f64 v[36:37], v[128:129], s[28:29], -v[32:33]
	v_fma_f64 v[12:13], v[84:85], s[10:11], v[12:13]
	v_mul_f64 v[44:45], v[110:111], s[46:47]
	v_add_f64 v[4:5], v[6:7], v[4:5]
	v_fma_f64 v[6:7], v[100:101], s[18:19], -v[30:31]
	v_add_f64 v[30:31], v[94:95], v[2:3]
	v_fma_f64 v[40:41], v[124:125], s[8:9], v[8:9]
	v_add_f64 v[2:3], v[16:17], v[0:1]
	v_add_f64 v[0:1], v[36:37], v[10:11]
	v_mul_f64 v[36:37], v[176:177], s[30:31]
	v_fma_f64 v[28:29], v[72:73], s[22:23], -v[28:29]
	v_mul_f64 v[181:182], v[120:121], s[36:37]
	v_add_f64 v[4:5], v[6:7], v[4:5]
	v_fma_f64 v[6:7], v[88:89], s[10:11], -v[38:39]
	v_add_f64 v[10:11], v[14:15], v[30:31]
	v_fma_f64 v[14:15], v[90:91], s[8:9], v[22:23]
	v_add_f64 v[16:17], v[96:97], v[40:41]
	v_fma_f64 v[22:23], v[116:117], s[26:27], v[42:43]
	v_mul_f64 v[30:31], v[140:141], s[2:3]
	v_mul_f64 v[38:39], v[172:173], s[46:47]
	;; [unrolled: 1-line block ×3, first 2 shown]
	v_add_f64 v[4:5], v[6:7], v[4:5]
	v_fma_f64 v[6:7], v[68:69], s[26:27], -v[26:27]
	v_add_f64 v[10:11], v[14:15], v[10:11]
	v_fma_f64 v[14:15], v[62:63], s[18:19], v[20:21]
	v_add_f64 v[16:17], v[22:23], v[16:17]
	v_fma_f64 v[20:21], v[112:113], s[8:9], -v[30:31]
	v_mul_f64 v[22:23], v[132:133], s[34:35]
	v_fma_f64 v[26:27], v[102:103], s[28:29], v[36:37]
	v_fma_f64 v[8:9], v[124:125], s[8:9], -v[8:9]
	v_add_f64 v[4:5], v[6:7], v[4:5]
	v_mul_f64 v[183:184], v[114:115], s[38:39]
	v_add_f64 v[6:7], v[14:15], v[10:11]
	v_mul_f64 v[185:186], v[144:145], s[24:25]
	v_add_f64 v[10:11], v[94:95], v[20:21]
	v_fma_f64 v[14:15], v[98:99], s[26:27], -v[22:23]
	v_mul_f64 v[20:21], v[118:119], s[30:31]
	v_add_f64 v[16:17], v[26:27], v[16:17]
	v_fma_f64 v[26:27], v[100:101], s[10:11], v[38:39]
	v_add_f64 v[4:5], v[28:29], v[4:5]
	v_add_f64 v[6:7], v[12:13], v[6:7]
	v_fma_f64 v[12:13], v[76:77], s[26:27], v[34:35]
	v_mul_f64 v[34:35], v[170:171], s[4:5]
	v_add_f64 v[10:11], v[14:15], v[10:11]
	v_fma_f64 v[14:15], v[90:91], s[28:29], -v[20:21]
	v_mul_f64 v[28:29], v[108:109], s[4:5]
	v_add_f64 v[16:17], v[26:27], v[16:17]
	v_fma_f64 v[26:27], v[88:89], s[6:7], v[40:41]
	v_fma_f64 v[42:43], v[116:117], s[26:27], -v[42:43]
	v_add_f64 v[6:7], v[12:13], v[6:7]
	v_fma_f64 v[12:13], v[64:65], s[22:23], v[24:25]
	v_fma_f64 v[24:25], v[68:69], s[0:1], v[34:35]
	v_add_f64 v[10:11], v[14:15], v[10:11]
	v_fma_f64 v[14:15], v[62:63], s[10:11], -v[44:45]
	v_fma_f64 v[30:31], v[112:113], s[8:9], v[30:31]
	v_add_f64 v[16:17], v[26:27], v[16:17]
	v_mul_f64 v[26:27], v[166:167], s[38:39]
	v_add_f64 v[8:9], v[96:97], v[8:9]
	v_add_f64 v[6:7], v[12:13], v[6:7]
	v_fma_f64 v[12:13], v[130:131], s[28:29], -v[18:19]
	v_fma_f64 v[18:19], v[128:129], s[28:29], v[32:33]
	v_add_f64 v[10:11], v[14:15], v[10:11]
	v_fma_f64 v[14:15], v[84:85], s[6:7], -v[181:182]
	v_add_f64 v[16:17], v[24:25], v[16:17]
	v_fma_f64 v[24:25], v[72:73], s[18:19], v[26:27]
	v_fma_f64 v[32:33], v[76:77], s[0:1], -v[28:29]
	v_fma_f64 v[22:23], v[98:99], s[26:27], v[22:23]
	v_fma_f64 v[34:35], v[68:69], s[0:1], -v[34:35]
	;; [unrolled: 2-line block ×3, first 2 shown]
	v_add_f64 v[14:15], v[14:15], v[10:11]
	v_add_f64 v[10:11], v[12:13], v[4:5]
	;; [unrolled: 1-line block ×3, first 2 shown]
	v_fma_f64 v[16:17], v[130:131], s[22:23], v[185:186]
	v_add_f64 v[24:25], v[94:95], v[30:31]
	v_add_f64 v[30:31], v[42:43], v[8:9]
	;; [unrolled: 1-line block ×3, first 2 shown]
	v_mul_f64 v[18:19], v[134:135], s[24:25]
	v_add_f64 v[12:13], v[32:33], v[14:15]
	v_fma_f64 v[14:15], v[64:65], s[18:19], -v[183:184]
	v_fma_f64 v[32:33], v[102:103], s[28:29], -v[36:37]
	v_add_f64 v[6:7], v[16:17], v[4:5]
	v_add_f64 v[4:5], v[22:23], v[24:25]
	v_fma_f64 v[16:17], v[90:91], s[28:29], v[20:21]
	v_fma_f64 v[22:23], v[100:101], s[10:11], -v[38:39]
	v_fma_f64 v[24:25], v[128:129], s[22:23], -v[18:19]
	v_fma_f64 v[36:37], v[62:63], s[10:11], v[44:45]
	v_add_f64 v[12:13], v[14:15], v[12:13]
	v_mul_f64 v[14:15], v[178:179], s[16:17]
	v_add_f64 v[20:21], v[32:33], v[30:31]
	v_mul_f64 v[32:33], v[46:47], s[44:45]
	;; [unrolled: 2-line block ×3, first 2 shown]
	v_mul_f64 v[42:43], v[172:173], s[2:3]
	v_mul_f64 v[44:45], v[118:119], s[36:37]
	v_add_f64 v[4:5], v[24:25], v[12:13]
	v_fma_f64 v[30:31], v[124:125], s[10:11], v[14:15]
	v_add_f64 v[20:21], v[22:23], v[20:21]
	v_fma_f64 v[22:23], v[88:89], s[6:7], -v[40:41]
	v_fma_f64 v[24:25], v[116:117], s[22:23], v[32:33]
	v_add_f64 v[16:17], v[36:37], v[16:17]
	v_fma_f64 v[36:37], v[84:85], s[6:7], v[181:182]
	v_mul_f64 v[40:41], v[132:133], s[44:45]
	v_fma_f64 v[181:182], v[64:65], s[18:19], v[183:184]
	v_add_f64 v[12:13], v[96:97], v[30:31]
	v_mul_f64 v[30:31], v[176:177], s[36:37]
	v_add_f64 v[20:21], v[22:23], v[20:21]
	v_fma_f64 v[22:23], v[112:113], s[10:11], -v[38:39]
	v_mul_f64 v[183:184], v[170:171], s[40:41]
	v_add_f64 v[16:17], v[36:37], v[16:17]
	v_fma_f64 v[36:37], v[98:99], s[22:23], -v[40:41]
	v_mul_f64 v[187:188], v[120:121], s[50:51]
	v_add_f64 v[12:13], v[24:25], v[12:13]
	v_fma_f64 v[24:25], v[102:103], s[6:7], v[30:31]
	v_add_f64 v[20:21], v[34:35], v[20:21]
	v_add_f64 v[22:23], v[94:95], v[22:23]
	v_mul_f64 v[34:35], v[168:169], s[50:51]
	v_add_f64 v[16:17], v[28:29], v[16:17]
	v_fma_f64 v[28:29], v[90:91], s[6:7], -v[44:45]
	v_fma_f64 v[14:15], v[124:125], s[10:11], -v[14:15]
	;; [unrolled: 1-line block ×3, first 2 shown]
	v_add_f64 v[12:13], v[24:25], v[12:13]
	v_fma_f64 v[24:25], v[100:101], s[8:9], v[42:43]
	v_add_f64 v[22:23], v[36:37], v[22:23]
	v_mul_f64 v[36:37], v[110:111], s[2:3]
	v_add_f64 v[20:21], v[26:27], v[20:21]
	v_add_f64 v[16:17], v[181:182], v[16:17]
	v_mul_f64 v[26:27], v[166:167], s[4:5]
	v_mul_f64 v[181:182], v[108:109], s[40:41]
	v_add_f64 v[14:15], v[96:97], v[14:15]
	v_add_f64 v[12:13], v[24:25], v[12:13]
	v_fma_f64 v[24:25], v[88:89], s[28:29], v[34:35]
	v_add_f64 v[22:23], v[28:29], v[22:23]
	v_fma_f64 v[28:29], v[62:63], s[8:9], -v[36:37]
	v_fma_f64 v[38:39], v[112:113], s[10:11], v[38:39]
	v_mul_f64 v[189:190], v[114:115], s[4:5]
	v_fma_f64 v[185:186], v[130:131], s[22:23], -v[185:186]
	v_mul_f64 v[191:192], v[144:145], s[34:35]
	v_add_f64 v[14:15], v[32:33], v[14:15]
	v_add_f64 v[12:13], v[24:25], v[12:13]
	v_fma_f64 v[24:25], v[68:69], s[18:19], v[183:184]
	v_add_f64 v[22:23], v[28:29], v[22:23]
	v_fma_f64 v[28:29], v[84:85], s[28:29], -v[187:188]
	v_fma_f64 v[30:31], v[102:103], s[6:7], -v[30:31]
	v_fma_f64 v[32:33], v[98:99], s[22:23], v[40:41]
	v_add_f64 v[38:39], v[94:95], v[38:39]
	v_fma_f64 v[40:41], v[128:129], s[22:23], v[18:19]
	v_fma_f64 v[42:43], v[100:101], s[8:9], -v[42:43]
	v_add_f64 v[12:13], v[24:25], v[12:13]
	v_fma_f64 v[24:25], v[72:73], s[0:1], v[26:27]
	v_add_f64 v[22:23], v[28:29], v[22:23]
	v_fma_f64 v[28:29], v[76:77], s[18:19], -v[181:182]
	v_add_f64 v[30:31], v[30:31], v[14:15]
	v_add_f64 v[32:33], v[32:33], v[38:39]
	v_fma_f64 v[38:39], v[90:91], s[6:7], v[44:45]
	v_add_f64 v[18:19], v[185:186], v[20:21]
	v_add_f64 v[16:17], v[40:41], v[16:17]
	;; [unrolled: 1-line block ×3, first 2 shown]
	v_fma_f64 v[24:25], v[64:65], s[0:1], -v[189:190]
	v_add_f64 v[22:23], v[28:29], v[22:23]
	v_fma_f64 v[28:29], v[130:131], s[26:27], v[191:192]
	v_mul_f64 v[40:41], v[140:141], s[24:25]
	v_mul_f64 v[44:45], v[176:177], s[38:39]
	v_fma_f64 v[26:27], v[72:73], s[0:1], -v[26:27]
	v_fma_f64 v[189:190], v[64:65], s[0:1], v[189:190]
	v_mul_f64 v[193:194], v[120:121], s[4:5]
	v_mul_f64 v[195:196], v[108:109], s[50:51]
	v_add_f64 v[20:21], v[24:25], v[22:23]
	v_mul_f64 v[22:23], v[178:179], s[24:25]
	v_add_f64 v[14:15], v[28:29], v[12:13]
	v_add_f64 v[12:13], v[42:43], v[30:31]
	v_fma_f64 v[24:25], v[88:89], s[28:29], -v[34:35]
	v_add_f64 v[28:29], v[38:39], v[32:33]
	v_fma_f64 v[30:31], v[62:63], s[8:9], v[36:37]
	v_mul_f64 v[36:37], v[46:47], s[48:49]
	v_mul_f64 v[32:33], v[134:135], s[34:35]
	v_fma_f64 v[34:35], v[124:125], s[22:23], v[22:23]
	v_fma_f64 v[22:23], v[124:125], s[22:23], -v[22:23]
	v_mul_f64 v[197:198], v[172:173], s[20:21]
	v_add_f64 v[12:13], v[24:25], v[12:13]
	v_fma_f64 v[24:25], v[68:69], s[18:19], -v[183:184]
	v_add_f64 v[28:29], v[30:31], v[28:29]
	v_fma_f64 v[30:31], v[84:85], s[28:29], v[187:188]
	v_fma_f64 v[42:43], v[116:117], s[8:9], v[36:37]
	v_add_f64 v[34:35], v[96:97], v[34:35]
	v_fma_f64 v[38:39], v[128:129], s[26:27], -v[32:33]
	v_mul_f64 v[183:184], v[172:173], s[42:43]
	v_mul_f64 v[187:188], v[118:119], s[38:39]
	v_add_f64 v[24:25], v[24:25], v[12:13]
	v_fma_f64 v[32:33], v[128:129], s[26:27], v[32:33]
	v_add_f64 v[12:13], v[30:31], v[28:29]
	v_fma_f64 v[28:29], v[76:77], s[18:19], v[181:182]
	v_fma_f64 v[30:31], v[112:113], s[22:23], -v[40:41]
	v_mul_f64 v[181:182], v[132:133], s[48:49]
	v_add_f64 v[34:35], v[42:43], v[34:35]
	v_fma_f64 v[42:43], v[102:103], s[18:19], v[44:45]
	v_add_f64 v[24:25], v[26:27], v[24:25]
	v_fma_f64 v[36:37], v[116:117], s[8:9], -v[36:37]
	v_add_f64 v[22:23], v[96:97], v[22:23]
	v_add_f64 v[28:29], v[28:29], v[12:13]
	;; [unrolled: 1-line block ×3, first 2 shown]
	v_fma_f64 v[185:186], v[98:99], s[8:9], -v[181:182]
	v_add_f64 v[12:13], v[38:39], v[20:21]
	v_add_f64 v[20:21], v[42:43], v[34:35]
	v_fma_f64 v[34:35], v[100:101], s[26:27], v[183:184]
	v_mul_f64 v[38:39], v[168:169], s[4:5]
	v_mul_f64 v[42:43], v[110:111], s[42:43]
	v_add_f64 v[28:29], v[189:190], v[28:29]
	v_mul_f64 v[189:190], v[170:171], s[50:51]
	v_add_f64 v[26:27], v[185:186], v[30:31]
	v_fma_f64 v[30:31], v[90:91], s[18:19], -v[187:188]
	v_fma_f64 v[185:186], v[130:131], s[26:27], -v[191:192]
	v_add_f64 v[20:21], v[34:35], v[20:21]
	v_fma_f64 v[34:35], v[88:89], s[0:1], v[38:39]
	v_fma_f64 v[191:192], v[62:63], s[26:27], -v[42:43]
	v_add_f64 v[22:23], v[36:37], v[22:23]
	v_fma_f64 v[36:37], v[76:77], s[28:29], -v[195:196]
	v_fma_f64 v[181:182], v[98:99], s[8:9], v[181:182]
	v_add_f64 v[30:31], v[30:31], v[26:27]
	v_add_f64 v[26:27], v[185:186], v[24:25]
	v_mul_f64 v[185:186], v[166:167], s[36:37]
	v_add_f64 v[20:21], v[34:35], v[20:21]
	v_fma_f64 v[34:35], v[68:69], s[28:29], v[189:190]
	v_add_f64 v[24:25], v[32:33], v[28:29]
	v_fma_f64 v[32:33], v[112:113], s[22:23], v[40:41]
	v_mul_f64 v[40:41], v[114:115], s[36:37]
	v_add_f64 v[30:31], v[191:192], v[30:31]
	v_fma_f64 v[191:192], v[84:85], s[0:1], -v[193:194]
	v_fma_f64 v[28:29], v[72:73], s[6:7], v[185:186]
	v_fma_f64 v[38:39], v[88:89], s[0:1], -v[38:39]
	v_add_f64 v[20:21], v[34:35], v[20:21]
	v_fma_f64 v[34:35], v[102:103], s[18:19], -v[44:45]
	v_mul_f64 v[44:45], v[144:145], s[16:17]
	v_add_f64 v[32:33], v[94:95], v[32:33]
	v_fma_f64 v[189:190], v[68:69], s[28:29], -v[189:190]
	v_add_f64 v[30:31], v[191:192], v[30:31]
	v_mul_f64 v[191:192], v[46:47], s[4:5]
	v_fma_f64 v[193:194], v[84:85], s[0:1], v[193:194]
	v_add_f64 v[20:21], v[28:29], v[20:21]
	v_add_f64 v[22:23], v[34:35], v[22:23]
	v_fma_f64 v[28:29], v[100:101], s[26:27], -v[183:184]
	v_fma_f64 v[34:35], v[64:65], s[6:7], -v[40:41]
	v_fma_f64 v[183:184], v[130:131], s[10:11], v[44:45]
	v_add_f64 v[30:31], v[36:37], v[30:31]
	v_mul_f64 v[36:37], v[178:179], s[30:31]
	v_add_f64 v[32:33], v[181:182], v[32:33]
	v_fma_f64 v[181:182], v[90:91], s[18:19], v[187:188]
	v_mul_f64 v[187:188], v[134:135], s[16:17]
	v_add_f64 v[28:29], v[28:29], v[22:23]
	v_mul_f64 v[199:200], v[168:169], s[42:43]
	v_add_f64 v[22:23], v[183:184], v[20:21]
	v_add_f64 v[30:31], v[34:35], v[30:31]
	v_fma_f64 v[34:35], v[124:125], s[28:29], v[36:37]
	v_mul_f64 v[183:184], v[176:177], s[44:45]
	v_add_f64 v[20:21], v[181:182], v[32:33]
	v_fma_f64 v[32:33], v[62:63], s[26:27], v[42:43]
	v_fma_f64 v[42:43], v[128:129], s[10:11], -v[187:188]
	v_add_f64 v[28:29], v[38:39], v[28:29]
	v_mul_f64 v[38:39], v[140:141], s[30:31]
	v_fma_f64 v[181:182], v[116:117], s[0:1], v[191:192]
	v_add_f64 v[34:35], v[96:97], v[34:35]
	v_fma_f64 v[185:186], v[72:73], s[6:7], -v[185:186]
	v_fma_f64 v[40:41], v[64:65], s[6:7], v[40:41]
	v_add_f64 v[32:33], v[32:33], v[20:21]
	v_add_f64 v[20:21], v[42:43], v[30:31]
	v_mul_f64 v[42:43], v[132:133], s[4:5]
	v_fma_f64 v[30:31], v[112:113], s[28:29], -v[38:39]
	v_add_f64 v[28:29], v[189:190], v[28:29]
	v_add_f64 v[34:35], v[181:182], v[34:35]
	v_fma_f64 v[181:182], v[102:103], s[22:23], v[183:184]
	v_fma_f64 v[189:190], v[76:77], s[28:29], v[195:196]
	v_add_f64 v[32:33], v[193:194], v[32:33]
	v_mul_f64 v[195:196], v[118:119], s[44:45]
	v_fma_f64 v[193:194], v[98:99], s[0:1], -v[42:43]
	v_add_f64 v[30:31], v[94:95], v[30:31]
	v_mul_f64 v[201:202], v[170:171], s[2:3]
	v_add_f64 v[28:29], v[185:186], v[28:29]
	v_add_f64 v[34:35], v[181:182], v[34:35]
	v_fma_f64 v[181:182], v[100:101], s[6:7], v[197:198]
	v_add_f64 v[32:33], v[189:190], v[32:33]
	v_fma_f64 v[189:190], v[90:91], s[22:23], -v[195:196]
	v_fma_f64 v[36:37], v[124:125], s[28:29], -v[36:37]
	v_add_f64 v[30:31], v[193:194], v[30:31]
	v_mul_f64 v[193:194], v[110:111], s[20:21]
	v_mul_f64 v[185:186], v[120:121], s[42:43]
	v_fma_f64 v[191:192], v[116:117], s[0:1], -v[191:192]
	v_add_f64 v[34:35], v[181:182], v[34:35]
	v_fma_f64 v[181:182], v[88:89], s[26:27], v[199:200]
	v_add_f64 v[32:33], v[40:41], v[32:33]
	v_add_f64 v[36:37], v[96:97], v[36:37]
	;; [unrolled: 1-line block ×3, first 2 shown]
	v_fma_f64 v[40:41], v[62:63], s[6:7], -v[193:194]
	v_fma_f64 v[44:45], v[130:131], s[10:11], -v[44:45]
	v_mul_f64 v[189:190], v[166:167], s[46:47]
	v_mul_f64 v[203:204], v[108:109], s[2:3]
	v_add_f64 v[34:35], v[181:182], v[34:35]
	v_fma_f64 v[181:182], v[68:69], s[8:9], v[201:202]
	v_add_f64 v[36:37], v[191:192], v[36:37]
	v_fma_f64 v[183:184], v[102:103], s[22:23], -v[183:184]
	v_add_f64 v[30:31], v[40:41], v[30:31]
	v_fma_f64 v[40:41], v[84:85], s[26:27], -v[185:186]
	v_fma_f64 v[205:206], v[72:73], s[10:11], v[189:190]
	v_fma_f64 v[42:43], v[98:99], s[0:1], v[42:43]
	;; [unrolled: 1-line block ×3, first 2 shown]
	v_add_f64 v[181:182], v[181:182], v[34:35]
	v_add_f64 v[34:35], v[44:45], v[28:29]
	v_mul_f64 v[44:45], v[144:145], s[38:39]
	v_add_f64 v[36:37], v[183:184], v[36:37]
	v_add_f64 v[28:29], v[40:41], v[30:31]
	v_fma_f64 v[30:31], v[112:113], s[28:29], v[38:39]
	v_fma_f64 v[38:39], v[76:77], s[8:9], -v[203:204]
	v_mul_f64 v[40:41], v[114:115], s[46:47]
	v_fma_f64 v[183:184], v[100:101], s[6:7], -v[197:198]
	v_add_f64 v[181:182], v[205:206], v[181:182]
	v_fma_f64 v[191:192], v[130:131], s[18:19], v[44:45]
	v_mul_f64 v[197:198], v[178:179], s[42:43]
	v_mul_f64 v[205:206], v[134:135], s[38:39]
	v_add_f64 v[30:31], v[94:95], v[30:31]
	v_add_f64 v[28:29], v[38:39], v[28:29]
	v_fma_f64 v[38:39], v[64:65], s[10:11], -v[40:41]
	v_add_f64 v[36:37], v[183:184], v[36:37]
	v_fma_f64 v[183:184], v[88:89], s[26:27], -v[199:200]
	v_fma_f64 v[195:196], v[90:91], s[22:23], v[195:196]
	v_add_f64 v[32:33], v[187:188], v[32:33]
	v_mul_f64 v[187:188], v[46:47], s[16:17]
	v_add_f64 v[42:43], v[42:43], v[30:31]
	v_add_f64 v[30:31], v[191:192], v[181:182]
	;; [unrolled: 1-line block ×3, first 2 shown]
	v_fma_f64 v[38:39], v[124:125], s[26:27], v[197:198]
	v_fma_f64 v[181:182], v[128:129], s[18:19], -v[205:206]
	v_add_f64 v[36:37], v[183:184], v[36:37]
	v_fma_f64 v[183:184], v[62:63], s[6:7], v[193:194]
	s_mov_b32 s47, 0x3fc7851a
	v_add_f64 v[42:43], v[195:196], v[42:43]
	v_mul_f64 v[195:196], v[140:141], s[42:43]
	s_mov_b32 s46, s4
	v_fma_f64 v[191:192], v[68:69], s[8:9], -v[201:202]
	v_add_f64 v[38:39], v[96:97], v[38:39]
	v_fma_f64 v[193:194], v[116:117], s[10:11], v[187:188]
	v_mul_f64 v[199:200], v[176:177], s[46:47]
	v_add_f64 v[28:29], v[181:182], v[28:29]
	v_add_f64 v[42:43], v[183:184], v[42:43]
	v_fma_f64 v[183:184], v[84:85], s[26:27], v[185:186]
	v_fma_f64 v[181:182], v[112:113], s[26:27], -v[195:196]
	v_mul_f64 v[185:186], v[132:133], s[16:17]
	v_add_f64 v[36:37], v[191:192], v[36:37]
	v_add_f64 v[38:39], v[193:194], v[38:39]
	v_fma_f64 v[191:192], v[102:103], s[0:1], v[199:200]
	v_mul_f64 v[193:194], v[172:173], s[44:45]
	v_fma_f64 v[189:190], v[72:73], s[10:11], -v[189:190]
	v_add_f64 v[42:43], v[183:184], v[42:43]
	v_fma_f64 v[183:184], v[76:77], s[8:9], v[203:204]
	v_add_f64 v[181:182], v[94:95], v[181:182]
	v_fma_f64 v[201:202], v[98:99], s[10:11], -v[185:186]
	v_mul_f64 v[203:204], v[118:119], s[46:47]
	v_add_f64 v[38:39], v[191:192], v[38:39]
	v_fma_f64 v[191:192], v[100:101], s[22:23], v[193:194]
	v_mul_f64 v[207:208], v[168:169], s[38:39]
	v_fma_f64 v[40:41], v[64:65], s[10:11], v[40:41]
	v_add_f64 v[42:43], v[183:184], v[42:43]
	v_add_f64 v[36:37], v[189:190], v[36:37]
	;; [unrolled: 1-line block ×3, first 2 shown]
	v_fma_f64 v[183:184], v[90:91], s[0:1], -v[203:204]
	v_mul_f64 v[189:190], v[110:111], s[44:45]
	v_add_f64 v[38:39], v[191:192], v[38:39]
	v_fma_f64 v[191:192], v[88:89], s[18:19], v[207:208]
	v_mul_f64 v[201:202], v[170:171], s[36:37]
	v_add_f64 v[40:41], v[40:41], v[42:43]
	v_fma_f64 v[42:43], v[130:131], s[18:19], -v[44:45]
	v_fma_f64 v[44:45], v[124:125], s[26:27], -v[197:198]
	v_add_f64 v[181:182], v[183:184], v[181:182]
	v_fma_f64 v[183:184], v[62:63], s[22:23], -v[189:190]
	v_mul_f64 v[197:198], v[120:121], s[38:39]
	v_add_f64 v[38:39], v[191:192], v[38:39]
	v_fma_f64 v[191:192], v[68:69], s[6:7], v[201:202]
	v_mul_f64 v[209:210], v[166:167], s[30:31]
	v_fma_f64 v[187:188], v[116:117], s[10:11], -v[187:188]
	v_add_f64 v[44:45], v[96:97], v[44:45]
	v_mul_f64 v[211:212], v[108:109], s[36:37]
	v_add_f64 v[181:182], v[183:184], v[181:182]
	v_fma_f64 v[183:184], v[84:85], s[18:19], -v[197:198]
	v_fma_f64 v[205:206], v[128:129], s[18:19], v[205:206]
	v_add_f64 v[42:43], v[42:43], v[36:37]
	v_add_f64 v[36:37], v[191:192], v[38:39]
	v_fma_f64 v[38:39], v[72:73], s[28:29], v[209:210]
	v_add_f64 v[44:45], v[187:188], v[44:45]
	v_fma_f64 v[187:188], v[102:103], s[0:1], -v[199:200]
	v_fma_f64 v[191:192], v[76:77], s[6:7], -v[211:212]
	v_add_f64 v[181:182], v[183:184], v[181:182]
	v_fma_f64 v[183:184], v[112:113], s[26:27], v[195:196]
	v_mul_f64 v[195:196], v[114:115], s[30:31]
	v_mul_f64 v[199:200], v[144:145], s[2:3]
	v_add_f64 v[40:41], v[205:206], v[40:41]
	v_add_f64 v[36:37], v[38:39], v[36:37]
	;; [unrolled: 1-line block ×3, first 2 shown]
	v_fma_f64 v[44:45], v[100:101], s[22:23], -v[193:194]
	v_fma_f64 v[185:186], v[98:99], s[10:11], v[185:186]
	v_add_f64 v[183:184], v[94:95], v[183:184]
	v_add_f64 v[181:182], v[191:192], v[181:182]
	v_fma_f64 v[187:188], v[64:65], s[28:29], -v[195:196]
	v_fma_f64 v[191:192], v[130:131], s[8:9], v[199:200]
	v_mul_f64 v[193:194], v[178:179], s[40:41]
	v_mul_f64 v[205:206], v[134:135], s[2:3]
	v_add_f64 v[44:45], v[44:45], v[38:39]
	v_fma_f64 v[207:208], v[88:89], s[18:19], -v[207:208]
	v_add_f64 v[183:184], v[185:186], v[183:184]
	v_fma_f64 v[185:186], v[90:91], s[0:1], v[203:204]
	v_add_f64 v[181:182], v[187:188], v[181:182]
	v_add_f64 v[38:39], v[191:192], v[36:37]
	v_fma_f64 v[36:37], v[124:125], s[18:19], v[193:194]
	v_mul_f64 v[187:188], v[46:47], s[30:31]
	v_fma_f64 v[191:192], v[128:129], s[8:9], -v[205:206]
	v_mul_f64 v[203:204], v[140:141], s[40:41]
	v_fma_f64 v[193:194], v[124:125], s[18:19], -v[193:194]
	v_add_f64 v[44:45], v[207:208], v[44:45]
	v_add_f64 v[183:184], v[185:186], v[183:184]
	v_fma_f64 v[185:186], v[62:63], s[22:23], v[189:190]
	v_fma_f64 v[189:190], v[68:69], s[6:7], -v[201:202]
	v_add_f64 v[201:202], v[96:97], v[36:37]
	v_fma_f64 v[207:208], v[116:117], s[28:29], v[187:188]
	v_mul_f64 v[213:214], v[176:177], s[16:17]
	v_add_f64 v[36:37], v[191:192], v[181:182]
	v_fma_f64 v[181:182], v[112:113], s[18:19], -v[203:204]
	v_mul_f64 v[191:192], v[132:133], s[30:31]
	v_fma_f64 v[187:188], v[116:117], s[28:29], -v[187:188]
	v_add_f64 v[193:194], v[96:97], v[193:194]
	v_fma_f64 v[203:204], v[112:113], s[18:19], v[203:204]
	v_add_f64 v[183:184], v[185:186], v[183:184]
	v_fma_f64 v[185:186], v[84:85], s[18:19], v[197:198]
	v_add_f64 v[44:45], v[189:190], v[44:45]
	v_add_f64 v[189:190], v[207:208], v[201:202]
	v_fma_f64 v[197:198], v[102:103], s[10:11], v[213:214]
	v_mul_f64 v[201:202], v[172:173], s[4:5]
	v_add_f64 v[181:182], v[94:95], v[181:182]
	v_fma_f64 v[207:208], v[98:99], s[28:29], -v[191:192]
	v_mul_f64 v[215:216], v[118:119], s[16:17]
	v_add_f64 v[187:188], v[187:188], v[193:194]
	v_fma_f64 v[193:194], v[102:103], s[10:11], -v[213:214]
	v_fma_f64 v[191:192], v[98:99], s[28:29], v[191:192]
	v_add_f64 v[203:204], v[94:95], v[203:204]
	v_add_f64 v[183:184], v[185:186], v[183:184]
	v_fma_f64 v[185:186], v[76:77], s[6:7], v[211:212]
	v_fma_f64 v[209:210], v[72:73], s[28:29], -v[209:210]
	v_add_f64 v[189:190], v[197:198], v[189:190]
	v_fma_f64 v[197:198], v[100:101], s[0:1], v[201:202]
	v_mul_f64 v[211:212], v[168:169], s[48:49]
	v_add_f64 v[181:182], v[207:208], v[181:182]
	v_fma_f64 v[207:208], v[90:91], s[10:11], -v[215:216]
	v_mul_f64 v[217:218], v[110:111], s[4:5]
	v_add_f64 v[187:188], v[193:194], v[187:188]
	v_fma_f64 v[193:194], v[100:101], s[0:1], -v[201:202]
	v_add_f64 v[191:192], v[191:192], v[203:204]
	v_fma_f64 v[201:202], v[90:91], s[10:11], v[215:216]
	v_add_f64 v[183:184], v[185:186], v[183:184]
	v_fma_f64 v[185:186], v[64:65], s[28:29], v[195:196]
	v_add_f64 v[44:45], v[209:210], v[44:45]
	v_fma_f64 v[195:196], v[130:131], s[8:9], -v[199:200]
	v_add_f64 v[189:190], v[197:198], v[189:190]
	v_fma_f64 v[197:198], v[88:89], s[8:9], v[211:212]
	v_add_f64 v[181:182], v[207:208], v[181:182]
	v_fma_f64 v[199:200], v[62:63], s[0:1], -v[217:218]
	v_mul_f64 v[207:208], v[120:121], s[48:49]
	v_mul_f64 v[209:210], v[170:171], s[44:45]
	v_add_f64 v[187:188], v[193:194], v[187:188]
	v_fma_f64 v[193:194], v[88:89], s[8:9], -v[211:212]
	v_add_f64 v[191:192], v[201:202], v[191:192]
	v_fma_f64 v[201:202], v[62:63], s[0:1], v[217:218]
	v_add_f64 v[174:175], v[96:97], v[174:175]
	v_add_f64 v[162:163], v[94:95], v[162:163]
	;; [unrolled: 1-line block ×3, first 2 shown]
	v_fma_f64 v[205:206], v[128:129], s[8:9], v[205:206]
	v_add_f64 v[183:184], v[195:196], v[44:45]
	v_add_f64 v[44:45], v[197:198], v[189:190]
	;; [unrolled: 1-line block ×3, first 2 shown]
	v_fma_f64 v[195:196], v[84:85], s[8:9], -v[207:208]
	v_mul_f64 v[197:198], v[108:109], s[44:45]
	v_fma_f64 v[199:200], v[68:69], s[22:23], v[209:210]
	v_add_f64 v[187:188], v[193:194], v[187:188]
	v_add_f64 v[191:192], v[201:202], v[191:192]
	v_fma_f64 v[193:194], v[84:85], s[8:9], v[207:208]
	v_add_f64 v[164:165], v[164:165], v[174:175]
	v_add_f64 v[158:159], v[158:159], v[162:163]
	;; [unrolled: 1-line block ×3, first 2 shown]
	v_mul_f64 v[185:186], v[166:167], s[34:35]
	v_add_f64 v[189:190], v[195:196], v[189:190]
	v_fma_f64 v[195:196], v[76:77], s[22:23], -v[197:198]
	v_add_f64 v[44:45], v[199:200], v[44:45]
	v_mul_f64 v[199:200], v[114:115], s[34:35]
	v_fma_f64 v[201:202], v[68:69], s[22:23], -v[209:210]
	v_add_f64 v[191:192], v[193:194], v[191:192]
	v_fma_f64 v[162:163], v[76:77], s[22:23], v[197:198]
	v_add_f64 v[160:161], v[160:161], v[164:165]
	v_add_f64 v[154:155], v[154:155], v[158:159]
	v_fma_f64 v[205:206], v[72:73], s[26:27], v[185:186]
	v_add_f64 v[189:190], v[195:196], v[189:190]
	v_mul_f64 v[195:196], v[144:145], s[20:21]
	v_fma_f64 v[213:214], v[64:65], s[26:27], -v[199:200]
	v_mul_f64 v[178:179], v[178:179], s[36:37]
	v_add_f64 v[187:188], v[201:202], v[187:188]
	v_fma_f64 v[185:186], v[72:73], s[26:27], -v[185:186]
	v_add_f64 v[158:159], v[162:163], v[191:192]
	v_fma_f64 v[162:163], v[64:65], s[26:27], v[199:200]
	v_add_f64 v[150:151], v[150:151], v[160:161]
	v_add_f64 v[146:147], v[146:147], v[154:155]
	;; [unrolled: 1-line block ×3, first 2 shown]
	v_fma_f64 v[203:204], v[130:131], s[6:7], v[195:196]
	v_add_f64 v[189:190], v[213:214], v[189:190]
	v_fma_f64 v[205:206], v[124:125], s[6:7], v[178:179]
	v_mul_f64 v[213:214], v[46:47], s[40:41]
	v_add_f64 v[154:155], v[185:186], v[187:188]
	v_add_f64 v[158:159], v[162:163], v[158:159]
	v_fma_f64 v[162:163], v[130:131], s[6:7], -v[195:196]
	v_add_f64 v[138:139], v[138:139], v[150:151]
	v_add_f64 v[122:123], v[122:123], v[146:147]
	;; [unrolled: 1-line block ×4, first 2 shown]
	v_fma_f64 v[205:206], v[116:117], s[18:19], v[213:214]
	v_mul_f64 v[176:177], v[176:177], s[42:43]
	v_mul_f64 v[150:151], v[140:141], s[36:37]
	v_add_f64 v[140:141], v[162:163], v[154:155]
	v_add_f64 v[154:155], v[156:157], v[138:139]
	;; [unrolled: 1-line block ×3, first 2 shown]
	v_mul_f64 v[172:173], v[172:173], s[30:31]
	v_mul_f64 v[132:133], v[132:133], s[40:41]
	v_add_f64 v[44:45], v[205:206], v[44:45]
	v_fma_f64 v[205:206], v[102:103], s[26:27], v[176:177]
	v_fma_f64 v[156:157], v[112:113], s[6:7], -v[150:151]
	v_mul_f64 v[168:169], v[168:169], s[24:25]
	v_add_f64 v[152:153], v[152:153], v[154:155]
	v_add_f64 v[106:107], v[136:137], v[106:107]
	v_fma_f64 v[164:165], v[100:101], s[28:29], v[172:173]
	v_fma_f64 v[124:125], v[124:125], s[6:7], -v[178:179]
	v_mul_f64 v[118:119], v[118:119], s[42:43]
	v_add_f64 v[193:194], v[205:206], v[44:45]
	v_add_f64 v[154:155], v[94:95], v[156:157]
	v_fma_f64 v[156:157], v[98:99], s[18:19], -v[132:133]
	v_fma_f64 v[112:113], v[112:113], s[6:7], v[150:151]
	v_add_f64 v[86:87], v[86:87], v[152:153]
	v_add_f64 v[82:83], v[82:83], v[106:107]
	v_mul_f64 v[170:171], v[170:171], s[16:17]
	v_fma_f64 v[116:117], v[116:117], s[18:19], -v[213:214]
	v_add_f64 v[160:161], v[164:165], v[193:194]
	v_fma_f64 v[164:165], v[88:89], s[22:23], v[168:169]
	v_add_f64 v[96:97], v[96:97], v[124:125]
	v_add_f64 v[124:125], v[156:157], v[154:155]
	v_fma_f64 v[136:137], v[90:91], s[26:27], -v[118:119]
	v_mul_f64 v[106:107], v[110:111], s[30:31]
	v_fma_f64 v[98:99], v[98:99], s[18:19], v[132:133]
	v_add_f64 v[94:95], v[94:95], v[112:113]
	v_add_f64 v[86:87], v[148:149], v[86:87]
	;; [unrolled: 1-line block ×4, first 2 shown]
	v_fma_f64 v[164:165], v[68:69], s[10:11], v[170:171]
	v_mul_f64 v[146:147], v[166:167], s[2:3]
	v_fma_f64 v[102:103], v[102:103], s[26:27], -v[176:177]
	v_add_f64 v[96:97], v[116:117], v[96:97]
	v_add_f64 v[110:111], v[136:137], v[124:125]
	v_fma_f64 v[112:113], v[62:63], s[28:29], -v[106:107]
	v_fma_f64 v[90:91], v[90:91], s[26:27], v[118:119]
	v_add_f64 v[94:95], v[98:99], v[94:95]
	v_add_f64 v[86:87], v[126:127], v[86:87]
	v_mul_f64 v[98:99], v[120:121], s[24:25]
	v_add_f64 v[82:83], v[104:105], v[82:83]
	v_add_f64 v[160:161], v[164:165], v[160:161]
	v_fma_f64 v[122:123], v[72:73], s[8:9], v[146:147]
	v_fma_f64 v[100:101], v[100:101], s[28:29], -v[172:173]
	v_add_f64 v[96:97], v[102:103], v[96:97]
	v_add_f64 v[102:103], v[112:113], v[110:111]
	v_fma_f64 v[62:63], v[62:63], s[28:29], v[106:107]
	v_mul_f64 v[104:105], v[144:145], s[4:5]
	v_add_f64 v[90:91], v[90:91], v[94:95]
	v_add_f64 v[58:59], v[58:59], v[86:87]
	v_fma_f64 v[86:87], v[84:85], s[22:23], -v[98:99]
	v_add_f64 v[80:81], v[80:81], v[82:83]
	v_mul_f64 v[94:95], v[108:109], s[16:17]
	v_add_f64 v[122:123], v[122:123], v[160:161]
	v_fma_f64 v[88:89], v[88:89], s[22:23], -v[168:169]
	v_add_f64 v[82:83], v[100:101], v[96:97]
	v_fma_f64 v[84:85], v[84:85], s[22:23], v[98:99]
	v_fma_f64 v[96:97], v[130:131], s[0:1], v[104:105]
	v_add_f64 v[62:63], v[62:63], v[90:91]
	v_add_f64 v[78:79], v[78:79], v[58:59]
	;; [unrolled: 1-line block ×4, first 2 shown]
	v_mul_f64 v[80:81], v[114:115], s[2:3]
	v_fma_f64 v[90:91], v[76:77], s[10:11], -v[94:95]
	v_fma_f64 v[68:69], v[68:69], s[10:11], -v[170:171]
	v_add_f64 v[58:59], v[96:97], v[122:123]
	v_mul_f64 v[96:97], v[134:135], s[4:5]
	v_add_f64 v[82:83], v[88:89], v[82:83]
	v_add_f64 v[62:63], v[84:85], v[62:63]
	;; [unrolled: 1-line block ×3, first 2 shown]
	v_fma_f64 v[78:79], v[64:65], s[8:9], -v[80:81]
	v_add_f64 v[84:85], v[90:91], v[86:87]
	v_add_f64 v[66:67], v[66:67], v[74:75]
	v_fma_f64 v[76:77], v[76:77], s[10:11], v[94:95]
	v_fma_f64 v[72:73], v[72:73], s[8:9], -v[146:147]
	v_add_f64 v[68:69], v[68:69], v[82:83]
	v_fma_f64 v[64:65], v[64:65], s[8:9], v[80:81]
	v_add_f64 v[48:49], v[48:49], v[70:71]
	v_fma_f64 v[70:71], v[128:129], s[0:1], -v[96:97]
	v_add_f64 v[74:75], v[78:79], v[84:85]
	v_add_f64 v[60:61], v[60:61], v[66:67]
	;; [unrolled: 1-line block ×3, first 2 shown]
	v_fma_f64 v[66:67], v[130:131], s[0:1], -v[104:105]
	v_add_f64 v[68:69], v[72:73], v[68:69]
	v_fma_f64 v[72:73], v[128:129], s[0:1], v[96:97]
	v_add_f64 v[48:49], v[54:55], v[48:49]
	v_mad_u64_u32 v[54:55], s[0:1], s12, v180, 0
	v_add_f64 v[76:77], v[56:57], v[60:61]
	v_add_f64 v[56:57], v[70:71], v[74:75]
	;; [unrolled: 1-line block ×4, first 2 shown]
	v_mul_f64 v[203:204], v[134:135], s[20:21]
	v_add_f64 v[52:53], v[52:53], v[48:49]
	v_mov_b32_e32 v48, s15
	v_add_u32_e32 v69, 0x68, v180
	v_add_f64 v[50:51], v[50:51], v[76:77]
	v_mad_u64_u32 v[66:67], s[0:1], s13, v180, v[55:56]
	v_add_f64 v[60:61], v[72:73], v[64:65]
	v_add_co_u32_e32 v67, vcc, s14, v92
	v_mov_b32_e32 v55, v66
	v_add_u32_e32 v64, 52, v180
	v_addc_co_u32_e32 v68, vcc, v48, v93, vcc
	v_lshlrev_b64 v[48:49], 4, v[54:55]
	v_mad_u64_u32 v[54:55], s[0:1], s12, v64, 0
	v_fma_f64 v[166:167], v[128:129], s[6:7], v[203:204]
	v_add_co_u32_e32 v48, vcc, v67, v48
	v_mad_u64_u32 v[64:65], s[0:1], s13, v64, v[55:56]
	v_mad_u64_u32 v[65:66], s[0:1], s12, v69, 0
	v_addc_co_u32_e32 v49, vcc, v68, v49, vcc
	global_store_dwordx4 v[48:49], v[50:53], off
	v_mov_b32_e32 v55, v64
	v_mov_b32_e32 v50, v66
	v_mad_u64_u32 v[50:51], s[0:1], s13, v69, v[50:51]
	v_add_u32_e32 v52, 0x9c, v180
	v_add_f64 v[138:139], v[166:167], v[158:159]
	v_mov_b32_e32 v66, v50
	v_mad_u64_u32 v[50:51], s[0:1], s12, v52, 0
	v_lshlrev_b64 v[48:49], 4, v[54:55]
	v_add_u32_e32 v54, 0xd0, v180
	v_add_co_u32_e32 v48, vcc, v67, v48
	v_addc_co_u32_e32 v49, vcc, v68, v49, vcc
	v_mad_u64_u32 v[51:52], s[0:1], s13, v52, v[51:52]
	global_store_dwordx4 v[48:49], v[60:63], off
	v_lshlrev_b64 v[48:49], 4, v[65:66]
	v_mad_u64_u32 v[52:53], s[0:1], s12, v54, 0
	v_add_co_u32_e32 v48, vcc, v67, v48
	v_addc_co_u32_e32 v49, vcc, v68, v49, vcc
	global_store_dwordx4 v[48:49], v[138:141], off
	v_lshlrev_b64 v[48:49], 4, v[50:51]
	v_mov_b32_e32 v50, v53
	v_mad_u64_u32 v[50:51], s[0:1], s13, v54, v[50:51]
	v_add_co_u32_e32 v48, vcc, v67, v48
	v_addc_co_u32_e32 v49, vcc, v68, v49, vcc
	v_mov_b32_e32 v53, v50
	global_store_dwordx4 v[48:49], v[181:184], off
	v_lshlrev_b64 v[48:49], 4, v[52:53]
	v_add_u32_e32 v52, 0x104, v180
	v_mad_u64_u32 v[50:51], s[0:1], s12, v52, 0
	v_add_co_u32_e32 v48, vcc, v67, v48
	v_mad_u64_u32 v[51:52], s[0:1], s13, v52, v[51:52]
	v_addc_co_u32_e32 v49, vcc, v68, v49, vcc
	v_add_u32_e32 v54, 0x138, v180
	v_mad_u64_u32 v[52:53], s[0:1], s12, v54, 0
	global_store_dwordx4 v[48:49], v[40:43], off
	v_fma_f64 v[174:175], v[128:129], s[6:7], -v[203:204]
	v_lshlrev_b64 v[40:41], 4, v[50:51]
	v_mov_b32_e32 v42, v53
	v_add_co_u32_e32 v40, vcc, v67, v40
	v_addc_co_u32_e32 v41, vcc, v68, v41, vcc
	global_store_dwordx4 v[40:41], v[32:35], off
	v_add_u32_e32 v40, 0x16c, v180
	v_mad_u64_u32 v[42:43], s[0:1], s13, v54, v[42:43]
	v_mad_u64_u32 v[34:35], s[0:1], s12, v40, 0
	v_mov_b32_e32 v53, v42
	v_lshlrev_b64 v[32:33], 4, v[52:53]
	v_mad_u64_u32 v[40:41], s[0:1], s13, v40, v[35:36]
	v_add_co_u32_e32 v32, vcc, v67, v32
	v_addc_co_u32_e32 v33, vcc, v68, v33, vcc
	v_add_u32_e32 v43, 0x1a0, v180
	v_mov_b32_e32 v35, v40
	v_mad_u64_u32 v[41:42], s[0:1], s12, v43, 0
	global_store_dwordx4 v[32:33], v[24:27], off
	v_add_f64 v[44:45], v[174:175], v[189:190]
	v_lshlrev_b64 v[24:25], 4, v[34:35]
	v_mov_b32_e32 v26, v42
	v_add_co_u32_e32 v24, vcc, v67, v24
	v_addc_co_u32_e32 v25, vcc, v68, v25, vcc
	global_store_dwordx4 v[24:25], v[16:19], off
	v_add_u32_e32 v24, 0x1d4, v180
	v_mad_u64_u32 v[26:27], s[0:1], s13, v43, v[26:27]
	v_mad_u64_u32 v[18:19], s[0:1], s12, v24, 0
	v_mov_b32_e32 v42, v26
	v_lshlrev_b64 v[16:17], 4, v[41:42]
	v_mad_u64_u32 v[24:25], s[0:1], s13, v24, v[19:20]
	v_add_co_u32_e32 v16, vcc, v67, v16
	v_addc_co_u32_e32 v17, vcc, v68, v17, vcc
	v_add_u32_e32 v27, 0x208, v180
	v_mov_b32_e32 v19, v24
	v_mad_u64_u32 v[25:26], s[0:1], s12, v27, 0
	global_store_dwordx4 v[16:17], v[8:11], off
	s_nop 0
	v_lshlrev_b64 v[8:9], 4, v[18:19]
	v_mov_b32_e32 v10, v26
	v_add_co_u32_e32 v8, vcc, v67, v8
	v_addc_co_u32_e32 v9, vcc, v68, v9, vcc
	global_store_dwordx4 v[8:9], v[0:3], off
	v_add_u32_e32 v8, 0x23c, v180
	v_mad_u64_u32 v[10:11], s[0:1], s13, v27, v[10:11]
	v_mad_u64_u32 v[2:3], s[0:1], s12, v8, 0
	v_mov_b32_e32 v26, v10
	v_add_u32_e32 v11, 0x270, v180
	v_mad_u64_u32 v[8:9], s[0:1], s13, v8, v[3:4]
	v_lshlrev_b64 v[0:1], 4, v[25:26]
	v_mad_u64_u32 v[9:10], s[0:1], s12, v11, 0
	v_add_co_u32_e32 v0, vcc, v67, v0
	v_addc_co_u32_e32 v1, vcc, v68, v1, vcc
	v_mov_b32_e32 v3, v8
	global_store_dwordx4 v[0:1], v[4:7], off
	v_lshlrev_b64 v[0:1], 4, v[2:3]
	v_mov_b32_e32 v2, v10
	v_mad_u64_u32 v[2:3], s[0:1], s13, v11, v[2:3]
	v_add_u32_e32 v4, 0x2a4, v180
	v_add_co_u32_e32 v0, vcc, v67, v0
	v_mov_b32_e32 v10, v2
	v_mad_u64_u32 v[2:3], s[0:1], s12, v4, 0
	v_addc_co_u32_e32 v1, vcc, v68, v1, vcc
	v_mad_u64_u32 v[3:4], s[0:1], s13, v4, v[3:4]
	v_add_u32_e32 v6, 0x2d8, v180
	global_store_dwordx4 v[0:1], v[12:15], off
	v_lshlrev_b64 v[0:1], 4, v[9:10]
	v_mad_u64_u32 v[4:5], s[0:1], s12, v6, 0
	v_add_co_u32_e32 v0, vcc, v67, v0
	v_addc_co_u32_e32 v1, vcc, v68, v1, vcc
	global_store_dwordx4 v[0:1], v[20:23], off
	v_lshlrev_b64 v[0:1], 4, v[2:3]
	v_mov_b32_e32 v2, v5
	v_mad_u64_u32 v[2:3], s[0:1], s13, v6, v[2:3]
	v_add_co_u32_e32 v0, vcc, v67, v0
	v_addc_co_u32_e32 v1, vcc, v68, v1, vcc
	v_mov_b32_e32 v5, v2
	global_store_dwordx4 v[0:1], v[28:31], off
	v_lshlrev_b64 v[0:1], 4, v[4:5]
	v_add_u32_e32 v4, 0x30c, v180
	v_mad_u64_u32 v[2:3], s[0:1], s12, v4, 0
	v_or_b32_e32 v6, 0x340, v180
	v_add_co_u32_e32 v0, vcc, v67, v0
	v_mad_u64_u32 v[3:4], s[0:1], s13, v4, v[3:4]
	v_mad_u64_u32 v[4:5], s[0:1], s12, v6, 0
	v_addc_co_u32_e32 v1, vcc, v68, v1, vcc
	global_store_dwordx4 v[0:1], v[36:39], off
	v_lshlrev_b64 v[0:1], 4, v[2:3]
	v_mov_b32_e32 v2, v5
	v_mad_u64_u32 v[2:3], s[0:1], s13, v6, v[2:3]
	v_add_co_u32_e32 v0, vcc, v67, v0
	v_addc_co_u32_e32 v1, vcc, v68, v1, vcc
	v_mov_b32_e32 v5, v2
	global_store_dwordx4 v[0:1], v[44:47], off
	v_lshlrev_b64 v[0:1], 4, v[4:5]
	v_add_co_u32_e32 v0, vcc, v67, v0
	v_addc_co_u32_e32 v1, vcc, v68, v1, vcc
	global_store_dwordx4 v[0:1], v[56:59], off
	s_endpgm
	.section	.rodata,"a",@progbits
	.p2align	6, 0x0
	.amdhsa_kernel fft_rtc_back_len884_factors_13_4_17_wgs_204_tpt_68_halfLds_dp_ip_CI_sbrr_dirReg
		.amdhsa_group_segment_fixed_size 0
		.amdhsa_private_segment_fixed_size 0
		.amdhsa_kernarg_size 88
		.amdhsa_user_sgpr_count 6
		.amdhsa_user_sgpr_private_segment_buffer 1
		.amdhsa_user_sgpr_dispatch_ptr 0
		.amdhsa_user_sgpr_queue_ptr 0
		.amdhsa_user_sgpr_kernarg_segment_ptr 1
		.amdhsa_user_sgpr_dispatch_id 0
		.amdhsa_user_sgpr_flat_scratch_init 0
		.amdhsa_user_sgpr_private_segment_size 0
		.amdhsa_uses_dynamic_stack 0
		.amdhsa_system_sgpr_private_segment_wavefront_offset 0
		.amdhsa_system_sgpr_workgroup_id_x 1
		.amdhsa_system_sgpr_workgroup_id_y 0
		.amdhsa_system_sgpr_workgroup_id_z 0
		.amdhsa_system_sgpr_workgroup_info 0
		.amdhsa_system_vgpr_workitem_id 0
		.amdhsa_next_free_vgpr 219
		.amdhsa_next_free_sgpr 52
		.amdhsa_reserve_vcc 1
		.amdhsa_reserve_flat_scratch 0
		.amdhsa_float_round_mode_32 0
		.amdhsa_float_round_mode_16_64 0
		.amdhsa_float_denorm_mode_32 3
		.amdhsa_float_denorm_mode_16_64 3
		.amdhsa_dx10_clamp 1
		.amdhsa_ieee_mode 1
		.amdhsa_fp16_overflow 0
		.amdhsa_exception_fp_ieee_invalid_op 0
		.amdhsa_exception_fp_denorm_src 0
		.amdhsa_exception_fp_ieee_div_zero 0
		.amdhsa_exception_fp_ieee_overflow 0
		.amdhsa_exception_fp_ieee_underflow 0
		.amdhsa_exception_fp_ieee_inexact 0
		.amdhsa_exception_int_div_zero 0
	.end_amdhsa_kernel
	.text
.Lfunc_end0:
	.size	fft_rtc_back_len884_factors_13_4_17_wgs_204_tpt_68_halfLds_dp_ip_CI_sbrr_dirReg, .Lfunc_end0-fft_rtc_back_len884_factors_13_4_17_wgs_204_tpt_68_halfLds_dp_ip_CI_sbrr_dirReg
                                        ; -- End function
	.section	.AMDGPU.csdata,"",@progbits
; Kernel info:
; codeLenInByte = 15384
; NumSgprs: 56
; NumVgprs: 219
; ScratchSize: 0
; MemoryBound: 1
; FloatMode: 240
; IeeeMode: 1
; LDSByteSize: 0 bytes/workgroup (compile time only)
; SGPRBlocks: 6
; VGPRBlocks: 54
; NumSGPRsForWavesPerEU: 56
; NumVGPRsForWavesPerEU: 219
; Occupancy: 1
; WaveLimiterHint : 1
; COMPUTE_PGM_RSRC2:SCRATCH_EN: 0
; COMPUTE_PGM_RSRC2:USER_SGPR: 6
; COMPUTE_PGM_RSRC2:TRAP_HANDLER: 0
; COMPUTE_PGM_RSRC2:TGID_X_EN: 1
; COMPUTE_PGM_RSRC2:TGID_Y_EN: 0
; COMPUTE_PGM_RSRC2:TGID_Z_EN: 0
; COMPUTE_PGM_RSRC2:TIDIG_COMP_CNT: 0
	.type	__hip_cuid_19db9c79deaf3df4,@object ; @__hip_cuid_19db9c79deaf3df4
	.section	.bss,"aw",@nobits
	.globl	__hip_cuid_19db9c79deaf3df4
__hip_cuid_19db9c79deaf3df4:
	.byte	0                               ; 0x0
	.size	__hip_cuid_19db9c79deaf3df4, 1

	.ident	"AMD clang version 19.0.0git (https://github.com/RadeonOpenCompute/llvm-project roc-6.4.0 25133 c7fe45cf4b819c5991fe208aaa96edf142730f1d)"
	.section	".note.GNU-stack","",@progbits
	.addrsig
	.addrsig_sym __hip_cuid_19db9c79deaf3df4
	.amdgpu_metadata
---
amdhsa.kernels:
  - .args:
      - .actual_access:  read_only
        .address_space:  global
        .offset:         0
        .size:           8
        .value_kind:     global_buffer
      - .offset:         8
        .size:           8
        .value_kind:     by_value
      - .actual_access:  read_only
        .address_space:  global
        .offset:         16
        .size:           8
        .value_kind:     global_buffer
      - .actual_access:  read_only
        .address_space:  global
        .offset:         24
        .size:           8
        .value_kind:     global_buffer
      - .offset:         32
        .size:           8
        .value_kind:     by_value
      - .actual_access:  read_only
        .address_space:  global
        .offset:         40
        .size:           8
        .value_kind:     global_buffer
      - .actual_access:  read_only
        .address_space:  global
        .offset:         48
        .size:           8
        .value_kind:     global_buffer
      - .offset:         56
        .size:           4
        .value_kind:     by_value
      - .actual_access:  read_only
        .address_space:  global
        .offset:         64
        .size:           8
        .value_kind:     global_buffer
      - .actual_access:  read_only
        .address_space:  global
        .offset:         72
        .size:           8
        .value_kind:     global_buffer
      - .address_space:  global
        .offset:         80
        .size:           8
        .value_kind:     global_buffer
    .group_segment_fixed_size: 0
    .kernarg_segment_align: 8
    .kernarg_segment_size: 88
    .language:       OpenCL C
    .language_version:
      - 2
      - 0
    .max_flat_workgroup_size: 204
    .name:           fft_rtc_back_len884_factors_13_4_17_wgs_204_tpt_68_halfLds_dp_ip_CI_sbrr_dirReg
    .private_segment_fixed_size: 0
    .sgpr_count:     56
    .sgpr_spill_count: 0
    .symbol:         fft_rtc_back_len884_factors_13_4_17_wgs_204_tpt_68_halfLds_dp_ip_CI_sbrr_dirReg.kd
    .uniform_work_group_size: 1
    .uses_dynamic_stack: false
    .vgpr_count:     219
    .vgpr_spill_count: 0
    .wavefront_size: 64
amdhsa.target:   amdgcn-amd-amdhsa--gfx906
amdhsa.version:
  - 1
  - 2
...

	.end_amdgpu_metadata
